;; amdgpu-corpus repo=ROCm/rocFFT kind=compiled arch=gfx1030 opt=O3
	.text
	.amdgcn_target "amdgcn-amd-amdhsa--gfx1030"
	.amdhsa_code_object_version 6
	.protected	fft_rtc_back_len2028_factors_13_4_3_13_wgs_156_tpt_156_dp_ip_CI_unitstride_sbrr_dirReg ; -- Begin function fft_rtc_back_len2028_factors_13_4_3_13_wgs_156_tpt_156_dp_ip_CI_unitstride_sbrr_dirReg
	.globl	fft_rtc_back_len2028_factors_13_4_3_13_wgs_156_tpt_156_dp_ip_CI_unitstride_sbrr_dirReg
	.p2align	8
	.type	fft_rtc_back_len2028_factors_13_4_3_13_wgs_156_tpt_156_dp_ip_CI_unitstride_sbrr_dirReg,@function
fft_rtc_back_len2028_factors_13_4_3_13_wgs_156_tpt_156_dp_ip_CI_unitstride_sbrr_dirReg: ; @fft_rtc_back_len2028_factors_13_4_3_13_wgs_156_tpt_156_dp_ip_CI_unitstride_sbrr_dirReg
; %bb.0:
	s_clause 0x2
	s_load_dwordx4 s[8:11], s[4:5], 0x0
	s_load_dwordx2 s[2:3], s[4:5], 0x50
	s_load_dwordx2 s[12:13], s[4:5], 0x18
	v_mul_u32_u24_e32 v1, 0x1a5, v0
	v_mov_b32_e32 v3, 0
	v_add_nc_u32_sdwa v5, s6, v1 dst_sel:DWORD dst_unused:UNUSED_PAD src0_sel:DWORD src1_sel:WORD_1
	v_mov_b32_e32 v1, 0
	v_mov_b32_e32 v6, v3
	v_mov_b32_e32 v2, 0
	s_waitcnt lgkmcnt(0)
	v_cmp_lt_u64_e64 s0, s[10:11], 2
	s_and_b32 vcc_lo, exec_lo, s0
	s_cbranch_vccnz .LBB0_8
; %bb.1:
	s_load_dwordx2 s[0:1], s[4:5], 0x10
	v_mov_b32_e32 v1, 0
	s_add_u32 s6, s12, 8
	v_mov_b32_e32 v2, 0
	s_addc_u32 s7, s13, 0
	s_mov_b64 s[16:17], 1
	s_waitcnt lgkmcnt(0)
	s_add_u32 s14, s0, 8
	s_addc_u32 s15, s1, 0
.LBB0_2:                                ; =>This Inner Loop Header: Depth=1
	s_load_dwordx2 s[18:19], s[14:15], 0x0
                                        ; implicit-def: $vgpr7_vgpr8
	s_mov_b32 s0, exec_lo
	s_waitcnt lgkmcnt(0)
	v_or_b32_e32 v4, s19, v6
	v_cmpx_ne_u64_e32 0, v[3:4]
	s_xor_b32 s1, exec_lo, s0
	s_cbranch_execz .LBB0_4
; %bb.3:                                ;   in Loop: Header=BB0_2 Depth=1
	v_cvt_f32_u32_e32 v4, s18
	v_cvt_f32_u32_e32 v7, s19
	s_sub_u32 s0, 0, s18
	s_subb_u32 s20, 0, s19
	v_fmac_f32_e32 v4, 0x4f800000, v7
	v_rcp_f32_e32 v4, v4
	v_mul_f32_e32 v4, 0x5f7ffffc, v4
	v_mul_f32_e32 v7, 0x2f800000, v4
	v_trunc_f32_e32 v7, v7
	v_fmac_f32_e32 v4, 0xcf800000, v7
	v_cvt_u32_f32_e32 v7, v7
	v_cvt_u32_f32_e32 v4, v4
	v_mul_lo_u32 v8, s0, v7
	v_mul_hi_u32 v9, s0, v4
	v_mul_lo_u32 v10, s20, v4
	v_add_nc_u32_e32 v8, v9, v8
	v_mul_lo_u32 v9, s0, v4
	v_add_nc_u32_e32 v8, v8, v10
	v_mul_hi_u32 v10, v4, v9
	v_mul_lo_u32 v11, v4, v8
	v_mul_hi_u32 v12, v4, v8
	v_mul_hi_u32 v13, v7, v9
	v_mul_lo_u32 v9, v7, v9
	v_mul_hi_u32 v14, v7, v8
	v_mul_lo_u32 v8, v7, v8
	v_add_co_u32 v10, vcc_lo, v10, v11
	v_add_co_ci_u32_e32 v11, vcc_lo, 0, v12, vcc_lo
	v_add_co_u32 v9, vcc_lo, v10, v9
	v_add_co_ci_u32_e32 v9, vcc_lo, v11, v13, vcc_lo
	v_add_co_ci_u32_e32 v10, vcc_lo, 0, v14, vcc_lo
	v_add_co_u32 v8, vcc_lo, v9, v8
	v_add_co_ci_u32_e32 v9, vcc_lo, 0, v10, vcc_lo
	v_add_co_u32 v4, vcc_lo, v4, v8
	v_add_co_ci_u32_e32 v7, vcc_lo, v7, v9, vcc_lo
	v_mul_hi_u32 v8, s0, v4
	v_mul_lo_u32 v10, s20, v4
	v_mul_lo_u32 v9, s0, v7
	v_add_nc_u32_e32 v8, v8, v9
	v_mul_lo_u32 v9, s0, v4
	v_add_nc_u32_e32 v8, v8, v10
	v_mul_hi_u32 v10, v4, v9
	v_mul_lo_u32 v11, v4, v8
	v_mul_hi_u32 v12, v4, v8
	v_mul_hi_u32 v13, v7, v9
	v_mul_lo_u32 v9, v7, v9
	v_mul_hi_u32 v14, v7, v8
	v_mul_lo_u32 v8, v7, v8
	v_add_co_u32 v10, vcc_lo, v10, v11
	v_add_co_ci_u32_e32 v11, vcc_lo, 0, v12, vcc_lo
	v_add_co_u32 v9, vcc_lo, v10, v9
	v_add_co_ci_u32_e32 v9, vcc_lo, v11, v13, vcc_lo
	v_add_co_ci_u32_e32 v10, vcc_lo, 0, v14, vcc_lo
	v_add_co_u32 v8, vcc_lo, v9, v8
	v_add_co_ci_u32_e32 v9, vcc_lo, 0, v10, vcc_lo
	v_add_co_u32 v4, vcc_lo, v4, v8
	v_add_co_ci_u32_e32 v11, vcc_lo, v7, v9, vcc_lo
	v_mul_hi_u32 v13, v5, v4
	v_mad_u64_u32 v[9:10], null, v6, v4, 0
	v_mad_u64_u32 v[7:8], null, v5, v11, 0
	;; [unrolled: 1-line block ×3, first 2 shown]
	v_add_co_u32 v4, vcc_lo, v13, v7
	v_add_co_ci_u32_e32 v7, vcc_lo, 0, v8, vcc_lo
	v_add_co_u32 v4, vcc_lo, v4, v9
	v_add_co_ci_u32_e32 v4, vcc_lo, v7, v10, vcc_lo
	v_add_co_ci_u32_e32 v7, vcc_lo, 0, v12, vcc_lo
	v_add_co_u32 v4, vcc_lo, v4, v11
	v_add_co_ci_u32_e32 v9, vcc_lo, 0, v7, vcc_lo
	v_mul_lo_u32 v10, s19, v4
	v_mad_u64_u32 v[7:8], null, s18, v4, 0
	v_mul_lo_u32 v11, s18, v9
	v_sub_co_u32 v7, vcc_lo, v5, v7
	v_add3_u32 v8, v8, v11, v10
	v_sub_nc_u32_e32 v10, v6, v8
	v_subrev_co_ci_u32_e64 v10, s0, s19, v10, vcc_lo
	v_add_co_u32 v11, s0, v4, 2
	v_add_co_ci_u32_e64 v12, s0, 0, v9, s0
	v_sub_co_u32 v13, s0, v7, s18
	v_sub_co_ci_u32_e32 v8, vcc_lo, v6, v8, vcc_lo
	v_subrev_co_ci_u32_e64 v10, s0, 0, v10, s0
	v_cmp_le_u32_e32 vcc_lo, s18, v13
	v_cmp_eq_u32_e64 s0, s19, v8
	v_cndmask_b32_e64 v13, 0, -1, vcc_lo
	v_cmp_le_u32_e32 vcc_lo, s19, v10
	v_cndmask_b32_e64 v14, 0, -1, vcc_lo
	v_cmp_le_u32_e32 vcc_lo, s18, v7
	;; [unrolled: 2-line block ×3, first 2 shown]
	v_cndmask_b32_e64 v15, 0, -1, vcc_lo
	v_cmp_eq_u32_e32 vcc_lo, s19, v10
	v_cndmask_b32_e64 v7, v15, v7, s0
	v_cndmask_b32_e32 v10, v14, v13, vcc_lo
	v_add_co_u32 v13, vcc_lo, v4, 1
	v_add_co_ci_u32_e32 v14, vcc_lo, 0, v9, vcc_lo
	v_cmp_ne_u32_e32 vcc_lo, 0, v10
	v_cndmask_b32_e32 v8, v14, v12, vcc_lo
	v_cndmask_b32_e32 v10, v13, v11, vcc_lo
	v_cmp_ne_u32_e32 vcc_lo, 0, v7
	v_cndmask_b32_e32 v8, v9, v8, vcc_lo
	v_cndmask_b32_e32 v7, v4, v10, vcc_lo
.LBB0_4:                                ;   in Loop: Header=BB0_2 Depth=1
	s_andn2_saveexec_b32 s0, s1
	s_cbranch_execz .LBB0_6
; %bb.5:                                ;   in Loop: Header=BB0_2 Depth=1
	v_cvt_f32_u32_e32 v4, s18
	s_sub_i32 s1, 0, s18
	v_rcp_iflag_f32_e32 v4, v4
	v_mul_f32_e32 v4, 0x4f7ffffe, v4
	v_cvt_u32_f32_e32 v4, v4
	v_mul_lo_u32 v7, s1, v4
	v_mul_hi_u32 v7, v4, v7
	v_add_nc_u32_e32 v4, v4, v7
	v_mul_hi_u32 v4, v5, v4
	v_mul_lo_u32 v7, v4, s18
	v_add_nc_u32_e32 v8, 1, v4
	v_sub_nc_u32_e32 v7, v5, v7
	v_subrev_nc_u32_e32 v9, s18, v7
	v_cmp_le_u32_e32 vcc_lo, s18, v7
	v_cndmask_b32_e32 v7, v7, v9, vcc_lo
	v_cndmask_b32_e32 v4, v4, v8, vcc_lo
	v_cmp_le_u32_e32 vcc_lo, s18, v7
	v_add_nc_u32_e32 v8, 1, v4
	v_cndmask_b32_e32 v7, v4, v8, vcc_lo
	v_mov_b32_e32 v8, v3
.LBB0_6:                                ;   in Loop: Header=BB0_2 Depth=1
	s_or_b32 exec_lo, exec_lo, s0
	s_load_dwordx2 s[0:1], s[6:7], 0x0
	v_mul_lo_u32 v4, v8, s18
	v_mul_lo_u32 v11, v7, s19
	v_mad_u64_u32 v[9:10], null, v7, s18, 0
	s_add_u32 s16, s16, 1
	s_addc_u32 s17, s17, 0
	s_add_u32 s6, s6, 8
	s_addc_u32 s7, s7, 0
	;; [unrolled: 2-line block ×3, first 2 shown]
	v_add3_u32 v4, v10, v11, v4
	v_sub_co_u32 v5, vcc_lo, v5, v9
	v_sub_co_ci_u32_e32 v4, vcc_lo, v6, v4, vcc_lo
	s_waitcnt lgkmcnt(0)
	v_mul_lo_u32 v6, s1, v5
	v_mul_lo_u32 v4, s0, v4
	v_mad_u64_u32 v[1:2], null, s0, v5, v[1:2]
	v_cmp_ge_u64_e64 s0, s[16:17], s[10:11]
	s_and_b32 vcc_lo, exec_lo, s0
	v_add3_u32 v2, v6, v2, v4
	s_cbranch_vccnz .LBB0_9
; %bb.7:                                ;   in Loop: Header=BB0_2 Depth=1
	v_mov_b32_e32 v5, v7
	v_mov_b32_e32 v6, v8
	s_branch .LBB0_2
.LBB0_8:
	v_mov_b32_e32 v8, v6
	v_mov_b32_e32 v7, v5
.LBB0_9:
	s_lshl_b64 s[0:1], s[10:11], 3
	v_mul_hi_u32 v5, 0x1a41a42, v0
	s_add_u32 s0, s12, s0
	s_addc_u32 s1, s13, s1
	v_mov_b32_e32 v66, 0
	s_load_dwordx2 s[0:1], s[0:1], 0x0
	s_load_dwordx2 s[4:5], s[4:5], 0x20
	v_mov_b32_e32 v67, 0
                                        ; implicit-def: $vgpr42_vgpr43
                                        ; implicit-def: $vgpr50_vgpr51
                                        ; implicit-def: $vgpr34_vgpr35
                                        ; implicit-def: $vgpr22_vgpr23
                                        ; implicit-def: $vgpr26_vgpr27
                                        ; implicit-def: $vgpr18_vgpr19
                                        ; implicit-def: $vgpr10_vgpr11
                                        ; implicit-def: $vgpr30_vgpr31
                                        ; implicit-def: $vgpr14_vgpr15
                                        ; implicit-def: $vgpr38_vgpr39
                                        ; implicit-def: $vgpr46_vgpr47
	s_waitcnt lgkmcnt(0)
	v_mul_lo_u32 v3, s0, v8
	v_mul_lo_u32 v4, s1, v7
	v_mad_u64_u32 v[1:2], null, s0, v7, v[1:2]
	v_cmp_gt_u64_e32 vcc_lo, s[4:5], v[7:8]
                                        ; implicit-def: $vgpr6_vgpr7
	v_add3_u32 v2, v4, v2, v3
	v_mul_u32_u24_e32 v3, 0x9c, v5
	v_lshlrev_b64 v[64:65], 4, v[1:2]
	v_sub_nc_u32_e32 v68, v0, v3
                                        ; implicit-def: $vgpr2_vgpr3
	s_and_saveexec_b32 s1, vcc_lo
	s_cbranch_execz .LBB0_11
; %bb.10:
	v_mov_b32_e32 v69, 0
	v_add_co_u32 v2, s0, s2, v64
	v_add_co_ci_u32_e64 v3, s0, s3, v65, s0
	v_lshlrev_b64 v[0:1], 4, v[68:69]
	v_mov_b32_e32 v66, v68
	v_mov_b32_e32 v67, v69
	v_add_co_u32 v4, s0, v2, v0
	v_add_co_ci_u32_e64 v5, s0, v3, v1, s0
	v_add_co_u32 v6, s0, 0x800, v4
	v_add_co_ci_u32_e64 v7, s0, 0, v5, s0
	v_add_co_u32 v8, s0, 0x1000, v4
	v_add_co_ci_u32_e64 v9, s0, 0, v5, s0
	s_clause 0x1
	global_load_dwordx4 v[0:3], v[4:5], off
	global_load_dwordx4 v[40:43], v[6:7], off offset:448
	v_add_co_u32 v6, s0, 0x1800, v4
	v_add_co_ci_u32_e64 v7, s0, 0, v5, s0
	v_add_co_u32 v10, s0, 0x2000, v4
	v_add_co_ci_u32_e64 v11, s0, 0, v5, s0
	;; [unrolled: 2-line block ×5, first 2 shown]
	s_clause 0x5
	global_load_dwordx4 v[48:51], v[8:9], off offset:896
	global_load_dwordx4 v[44:47], v[6:7], off offset:1344
	;; [unrolled: 1-line block ×6, first 2 shown]
	v_add_co_u32 v6, s0, 0x4800, v4
	v_add_co_ci_u32_e64 v7, s0, 0, v5, s0
	v_add_co_u32 v8, s0, 0x5000, v4
	v_add_co_ci_u32_e64 v9, s0, 0, v5, s0
	v_add_co_u32 v10, s0, 0x6000, v4
	v_add_co_ci_u32_e64 v11, s0, 0, v5, s0
	v_add_co_u32 v52, s0, 0x6800, v4
	v_add_co_ci_u32_e64 v53, s0, 0, v5, s0
	v_add_co_u32 v4, s0, 0x7000, v4
	v_add_co_ci_u32_e64 v5, s0, 0, v5, s0
	s_clause 0x4
	global_load_dwordx4 v[28:31], v[6:7], off offset:1536
	global_load_dwordx4 v[24:27], v[8:9], off offset:1984
	;; [unrolled: 1-line block ×5, first 2 shown]
.LBB0_11:
	s_or_b32 exec_lo, exec_lo, s1
	s_waitcnt vmcnt(11)
	v_add_f64 v[93:94], v[40:41], v[0:1]
	v_add_f64 v[95:96], v[42:43], v[2:3]
	s_waitcnt vmcnt(2)
	v_add_f64 v[77:78], v[16:17], v[44:45]
	v_add_f64 v[89:90], v[44:45], -v[16:17]
	s_waitcnt vmcnt(0)
	v_add_f64 v[97:98], v[42:43], -v[6:7]
	v_add_f64 v[101:102], v[42:43], v[6:7]
	v_add_f64 v[99:100], v[40:41], v[4:5]
	v_add_f64 v[40:41], v[40:41], -v[4:5]
	s_mov_b32 s19, 0xbfddbe06
	s_mov_b32 s18, 0x4267c47c
	v_add_f64 v[56:57], v[32:33], v[28:29]
	v_add_f64 v[58:59], v[34:35], v[30:31]
	v_add_f64 v[73:74], v[32:33], -v[28:29]
	v_add_f64 v[75:76], v[34:35], -v[30:31]
	v_add_f64 v[79:80], v[18:19], v[46:47]
	v_add_f64 v[91:92], v[46:47], -v[18:19]
	v_add_f64 v[85:86], v[48:49], v[8:9]
	v_add_f64 v[87:88], v[50:51], v[10:11]
	s_mov_b32 s20, 0x42a4c3d2
	s_mov_b32 s28, 0x66966769
	s_mov_b32 s14, 0x2ef20147
	s_mov_b32 s22, 0x24c2f84
	v_add_f64 v[93:94], v[48:49], v[93:94]
	v_add_f64 v[95:96], v[50:51], v[95:96]
	v_add_f64 v[48:49], v[48:49], -v[8:9]
	v_add_f64 v[50:51], v[50:51], -v[10:11]
	s_mov_b32 s26, 0x4bc48dbf
	s_mov_b32 s16, 0xe00740e9
	;; [unrolled: 1-line block ×3, first 2 shown]
	v_mul_f64 v[109:110], v[40:41], s[18:19]
	s_mov_b32 s29, 0xbfefc445
	s_mov_b32 s15, 0xbfedeba7
	;; [unrolled: 1-line block ×5, first 2 shown]
	v_add_f64 v[52:53], v[20:21], v[12:13]
	v_add_f64 v[54:55], v[22:23], v[14:15]
	v_add_f64 v[60:61], v[20:21], -v[12:13]
	v_add_f64 v[62:63], v[22:23], -v[14:15]
	v_mul_f64 v[103:104], v[97:98], s[14:15]
	v_mul_f64 v[105:106], v[97:98], s[22:23]
	;; [unrolled: 1-line block ×3, first 2 shown]
	s_mov_b32 s0, 0x1ea71119
	s_mov_b32 s6, 0xebaa3ed8
	v_add_f64 v[42:43], v[44:45], v[93:94]
	v_add_f64 v[44:45], v[46:47], v[95:96]
	v_mul_f64 v[46:47], v[97:98], s[18:19]
	v_mul_f64 v[93:94], v[97:98], s[20:21]
	;; [unrolled: 1-line block ×6, first 2 shown]
	v_fma_f64 v[171:172], v[101:102], s[16:17], -v[109:110]
	s_mov_b32 s10, 0xb2365da1
	s_mov_b32 s12, 0xd0032e0c
	;; [unrolled: 1-line block ×8, first 2 shown]
	v_add_f64 v[81:82], v[36:37], -v[24:25]
	v_add_f64 v[83:84], v[38:39], -v[26:27]
	v_mul_f64 v[113:114], v[40:41], s[28:29]
	v_mul_f64 v[115:116], v[40:41], s[14:15]
	;; [unrolled: 1-line block ×3, first 2 shown]
	v_add_f64 v[107:108], v[36:37], v[42:43]
	v_add_f64 v[44:45], v[38:39], v[44:45]
	v_fma_f64 v[169:170], v[99:100], s[16:17], v[46:47]
	v_mul_f64 v[119:120], v[40:41], s[26:27]
	v_mul_f64 v[125:126], v[91:92], s[28:29]
	;; [unrolled: 1-line block ×5, first 2 shown]
	v_fma_f64 v[46:47], v[99:100], s[16:17], -v[46:47]
	v_fma_f64 v[173:174], v[99:100], s[0:1], v[93:94]
	v_fma_f64 v[93:94], v[99:100], s[0:1], -v[93:94]
	v_fma_f64 v[175:176], v[99:100], s[6:7], v[95:96]
	;; [unrolled: 2-line block ×7, first 2 shown]
	v_add_f64 v[32:33], v[32:33], v[107:108]
	v_add_f64 v[34:35], v[34:35], v[44:45]
	v_fma_f64 v[183:184], v[85:86], s[0:1], v[121:122]
	v_fma_f64 v[185:186], v[87:88], s[0:1], -v[123:124]
	v_add_f64 v[169:170], v[169:170], v[0:1]
	v_add_f64 v[171:172], v[171:172], v[2:3]
	s_mov_b32 s25, 0x3fefc445
	s_mov_b32 s35, 0x3fedeba7
	;; [unrolled: 1-line block ×4, first 2 shown]
	v_add_f64 v[69:70], v[24:25], v[36:37]
	v_add_f64 v[71:72], v[26:27], v[38:39]
	v_mul_f64 v[129:130], v[83:84], s[14:15]
	v_mul_f64 v[131:132], v[81:82], s[14:15]
	v_mul_f64 v[137:138], v[91:92], s[26:27]
	v_mul_f64 v[44:45], v[89:90], s[26:27]
	v_mul_f64 v[141:142], v[75:76], s[24:25]
	v_mul_f64 v[143:144], v[73:74], s[24:25]
	v_mul_f64 v[145:146], v[50:51], s[26:27]
	v_mul_f64 v[147:148], v[48:49], s[26:27]
	v_mul_f64 v[149:150], v[91:92], s[34:35]
	v_fma_f64 v[187:188], v[101:102], s[12:13], -v[117:118]
	v_add_f64 v[20:21], v[20:21], v[32:33]
	v_add_f64 v[22:23], v[22:23], v[34:35]
	v_fma_f64 v[117:118], v[101:102], s[12:13], v[117:118]
	v_fma_f64 v[189:190], v[101:102], s[4:5], -v[119:120]
	v_fma_f64 v[191:192], v[79:80], s[6:7], -v[127:128]
	v_fma_f64 v[201:202], v[85:86], s[10:11], v[133:134]
	v_fma_f64 v[203:204], v[87:88], s[10:11], -v[135:136]
	v_add_f64 v[169:170], v[183:184], v[169:170]
	v_add_f64 v[171:172], v[185:186], v[171:172]
	v_fma_f64 v[133:134], v[85:86], s[10:11], -v[133:134]
	v_fma_f64 v[135:136], v[87:88], s[10:11], v[135:136]
	v_add_f64 v[93:94], v[93:94], v[0:1]
	v_add_f64 v[111:112], v[111:112], v[2:3]
	s_mov_b32 s31, 0x3fe5384d
	s_mov_b32 s30, s22
	v_mul_f64 v[40:41], v[75:76], s[22:23]
	v_mul_f64 v[42:43], v[73:74], s[22:23]
	;; [unrolled: 1-line block ×7, first 2 shown]
	v_add_f64 v[12:13], v[12:13], v[20:21]
	v_add_f64 v[14:15], v[14:15], v[22:23]
	v_fma_f64 v[20:21], v[101:102], s[6:7], -v[113:114]
	v_fma_f64 v[22:23], v[101:102], s[6:7], v[113:114]
	v_fma_f64 v[113:114], v[101:102], s[10:11], -v[115:116]
	v_fma_f64 v[115:116], v[101:102], s[10:11], v[115:116]
	v_fma_f64 v[101:102], v[101:102], s[4:5], v[119:120]
	;; [unrolled: 1-line block ×4, first 2 shown]
	v_fma_f64 v[195:196], v[71:72], s[10:11], -v[131:132]
	v_add_f64 v[173:174], v[173:174], v[0:1]
	v_add_f64 v[109:110], v[109:110], v[2:3]
	v_fma_f64 v[183:184], v[77:78], s[4:5], v[137:138]
	v_fma_f64 v[185:186], v[79:80], s[4:5], -v[44:45]
	v_fma_f64 v[209:210], v[56:57], s[6:7], v[141:142]
	v_fma_f64 v[211:212], v[58:59], s[6:7], -v[143:144]
	v_fma_f64 v[137:138], v[77:78], s[4:5], -v[137:138]
	v_fma_f64 v[44:45], v[79:80], s[4:5], v[44:45]
	v_add_f64 v[93:94], v[133:134], v[93:94]
	v_add_f64 v[111:112], v[135:136], v[111:112]
	v_fma_f64 v[133:134], v[77:78], s[10:11], -v[149:150]
	s_mov_b32 s19, 0x3fddbe06
	v_add_f64 v[12:13], v[28:29], v[12:13]
	v_add_f64 v[14:15], v[30:31], v[14:15]
	;; [unrolled: 1-line block ×3, first 2 shown]
	v_mul_f64 v[36:37], v[62:63], s[26:27]
	v_mul_f64 v[38:39], v[60:61], s[26:27]
	;; [unrolled: 1-line block ×4, first 2 shown]
	v_add_f64 v[119:120], v[119:120], v[169:170]
	v_add_f64 v[169:170], v[191:192], v[171:172]
	v_fma_f64 v[171:172], v[77:78], s[10:11], v[149:150]
	v_add_f64 v[149:150], v[175:176], v[0:1]
	v_mul_f64 v[32:33], v[91:92], s[18:19]
	v_mul_f64 v[34:35], v[89:90], s[18:19]
	v_fma_f64 v[197:198], v[56:57], s[12:13], v[40:41]
	v_fma_f64 v[199:200], v[58:59], s[12:13], -v[42:43]
	v_fma_f64 v[205:206], v[69:70], s[12:13], v[107:108]
	v_fma_f64 v[207:208], v[71:72], s[12:13], -v[139:140]
	v_fma_f64 v[107:108], v[69:70], s[12:13], -v[107:108]
	v_fma_f64 v[139:140], v[71:72], s[12:13], v[139:140]
	v_add_f64 v[173:174], v[201:202], v[173:174]
	v_add_f64 v[109:110], v[203:204], v[109:110]
	v_fma_f64 v[191:192], v[79:80], s[10:11], -v[151:152]
	v_add_f64 v[12:13], v[24:25], v[12:13]
	v_add_f64 v[14:15], v[26:27], v[14:15]
	v_fma_f64 v[24:25], v[56:57], s[6:7], -v[141:142]
	v_fma_f64 v[26:27], v[58:59], s[6:7], v[143:144]
	v_fma_f64 v[141:142], v[85:86], s[4:5], v[145:146]
	v_fma_f64 v[143:144], v[87:88], s[4:5], -v[147:148]
	v_fma_f64 v[145:146], v[85:86], s[4:5], -v[145:146]
	v_fma_f64 v[147:148], v[87:88], s[4:5], v[147:148]
	v_fma_f64 v[135:136], v[79:80], s[10:11], v[151:152]
	;; [unrolled: 1-line block ×3, first 2 shown]
	v_fma_f64 v[175:176], v[87:88], s[12:13], -v[155:156]
	v_add_f64 v[119:120], v[193:194], v[119:120]
	v_add_f64 v[169:170], v[195:196], v[169:170]
	;; [unrolled: 1-line block ×8, first 2 shown]
	v_mul_f64 v[157:158], v[83:84], s[28:29]
	v_mul_f64 v[159:160], v[81:82], s[28:29]
	v_fma_f64 v[28:29], v[52:53], s[4:5], v[36:37]
	v_fma_f64 v[30:31], v[54:55], s[4:5], -v[38:39]
	v_add_f64 v[173:174], v[183:184], v[173:174]
	v_add_f64 v[109:110], v[185:186], v[109:110]
	;; [unrolled: 1-line block ×6, first 2 shown]
	v_fma_f64 v[16:17], v[69:70], s[16:17], v[165:166]
	v_fma_f64 v[18:19], v[71:72], s[16:17], -v[167:168]
	v_fma_f64 v[183:184], v[77:78], s[16:17], v[32:33]
	v_fma_f64 v[185:186], v[79:80], s[16:17], -v[34:35]
	v_add_f64 v[46:47], v[46:47], v[0:1]
	v_add_f64 v[99:100], v[99:100], v[2:3]
	;; [unrolled: 1-line block ×22, first 2 shown]
	s_mov_b32 s27, 0x3fcea1e5
	v_mul_f64 v[161:162], v[62:63], s[18:19]
	v_add_f64 v[141:142], v[205:206], v[173:174]
	v_add_f64 v[12:13], v[8:9], v[12:13]
	;; [unrolled: 1-line block ×5, first 2 shown]
	v_mul_f64 v[28:29], v[75:76], s[20:21]
	v_mul_f64 v[30:31], v[73:74], s[20:21]
	v_fma_f64 v[113:114], v[69:70], s[16:17], -v[165:166]
	v_add_f64 v[95:96], v[133:134], v[95:96]
	v_add_f64 v[22:23], v[135:136], v[22:23]
	v_fma_f64 v[119:120], v[71:72], s[16:17], v[167:168]
	v_fma_f64 v[133:134], v[69:70], s[6:7], v[157:158]
	v_add_f64 v[24:25], v[24:25], v[93:94]
	v_add_f64 v[93:94], v[26:27], v[44:45]
	v_fma_f64 v[26:27], v[85:86], s[12:13], -v[153:154]
	v_fma_f64 v[44:45], v[87:88], s[12:13], v[155:156]
	v_add_f64 v[16:17], v[16:17], v[97:98]
	v_add_f64 v[18:19], v[18:19], v[20:21]
	;; [unrolled: 1-line block ×4, first 2 shown]
	v_mul_f64 v[101:102], v[50:51], s[24:25]
	v_mul_f64 v[107:108], v[48:49], s[24:25]
	v_fma_f64 v[135:136], v[71:72], s[6:7], -v[159:160]
	v_mul_f64 v[137:138], v[75:76], s[26:27]
	v_mul_f64 v[139:140], v[73:74], s[26:27]
	v_add_f64 v[111:112], v[209:210], v[141:142]
	v_add_f64 v[4:5], v[4:5], v[12:13]
	v_fma_f64 v[12:13], v[52:53], s[16:17], v[161:162]
	v_fma_f64 v[141:142], v[56:57], s[0:1], v[28:29]
	v_fma_f64 v[143:144], v[58:59], s[0:1], -v[30:31]
	v_add_f64 v[95:96], v[113:114], v[95:96]
	v_fma_f64 v[28:29], v[56:57], s[0:1], -v[28:29]
	v_add_f64 v[22:23], v[119:120], v[22:23]
	v_fma_f64 v[30:31], v[58:59], s[0:1], v[30:31]
	v_fma_f64 v[32:33], v[77:78], s[16:17], -v[32:33]
	v_fma_f64 v[34:35], v[79:80], s[16:17], v[34:35]
	v_add_f64 v[26:27], v[26:27], v[103:104]
	v_add_f64 v[44:45], v[44:45], v[115:116]
	v_fma_f64 v[103:104], v[52:53], s[16:17], -v[161:162]
	v_mul_f64 v[155:156], v[91:92], s[20:21]
	v_mul_f64 v[161:162], v[89:90], s[20:21]
	v_add_f64 v[20:21], v[133:134], v[20:21]
	v_fma_f64 v[115:116], v[85:86], s[6:7], v[101:102]
	v_fma_f64 v[119:120], v[87:88], s[6:7], -v[107:108]
	v_add_f64 v[97:98], v[135:136], v[97:98]
	v_fma_f64 v[133:134], v[56:57], s[4:5], v[137:138]
	v_fma_f64 v[135:136], v[58:59], s[4:5], -v[139:140]
	v_mul_f64 v[50:51], v[50:51], s[18:19]
	v_mul_f64 v[48:49], v[48:49], s[18:19]
	v_fma_f64 v[101:102], v[85:86], s[6:7], -v[101:102]
	v_add_f64 v[141:142], v[141:142], v[16:17]
	v_fma_f64 v[107:108], v[87:88], s[6:7], v[107:108]
	v_mul_f64 v[91:92], v[91:92], s[22:23]
	v_add_f64 v[28:29], v[28:29], v[95:96]
	v_mul_f64 v[89:90], v[89:90], s[22:23]
	v_add_f64 v[95:96], v[30:31], v[22:23]
	s_mov_b32 s21, 0x3fea55e2
	v_mul_f64 v[163:164], v[60:61], s[18:19]
	v_add_f64 v[16:17], v[32:33], v[26:27]
	v_add_f64 v[22:23], v[34:35], v[44:45]
	v_fma_f64 v[26:27], v[69:70], s[6:7], -v[157:158]
	v_fma_f64 v[32:33], v[71:72], s[6:7], v[159:160]
	v_mul_f64 v[157:158], v[83:84], s[26:27]
	v_mul_f64 v[159:160], v[81:82], s[26:27]
	v_add_f64 v[34:35], v[115:116], v[149:150]
	v_add_f64 v[44:45], v[119:120], v[169:170]
	v_fma_f64 v[115:116], v[77:78], s[0:1], v[155:156]
	v_fma_f64 v[119:120], v[79:80], s[0:1], -v[161:162]
	v_add_f64 v[133:134], v[133:134], v[20:21]
	v_add_f64 v[97:98], v[135:136], v[97:98]
	v_fma_f64 v[20:21], v[85:86], s[16:17], v[50:51]
	v_fma_f64 v[135:136], v[87:88], s[16:17], -v[48:49]
	v_fma_f64 v[50:51], v[85:86], s[16:17], -v[50:51]
	v_fma_f64 v[48:49], v[87:88], s[16:17], v[48:49]
	v_fma_f64 v[85:86], v[85:86], s[0:1], -v[121:122]
	v_fma_f64 v[87:88], v[87:88], s[0:1], v[123:124]
	v_mul_f64 v[83:84], v[83:84], s[20:21]
	v_mul_f64 v[81:82], v[81:82], s[20:21]
	;; [unrolled: 1-line block ×6, first 2 shown]
	v_add_f64 v[16:17], v[26:27], v[16:17]
	v_add_f64 v[22:23], v[32:33], v[22:23]
	;; [unrolled: 1-line block ×3, first 2 shown]
	v_fma_f64 v[14:15], v[54:55], s[16:17], -v[163:164]
	v_fma_f64 v[113:114], v[54:55], s[16:17], v[163:164]
	v_add_f64 v[18:19], v[143:144], v[18:19]
	v_add_f64 v[26:27], v[115:116], v[34:35]
	;; [unrolled: 1-line block ×5, first 2 shown]
	v_fma_f64 v[101:102], v[77:78], s[0:1], -v[155:156]
	v_fma_f64 v[105:106], v[79:80], s[0:1], v[161:162]
	v_add_f64 v[20:21], v[20:21], v[145:146]
	v_add_f64 v[107:108], v[135:136], v[147:148]
	v_fma_f64 v[115:116], v[77:78], s[12:13], v[91:92]
	v_fma_f64 v[117:118], v[79:80], s[12:13], -v[89:90]
	v_add_f64 v[0:1], v[50:51], v[0:1]
	v_add_f64 v[2:3], v[48:49], v[2:3]
	v_fma_f64 v[48:49], v[77:78], s[12:13], -v[91:92]
	v_fma_f64 v[50:51], v[79:80], s[12:13], v[89:90]
	v_add_f64 v[46:47], v[85:86], v[46:47]
	v_add_f64 v[85:86], v[87:88], v[99:100]
	v_fma_f64 v[77:78], v[77:78], s[6:7], -v[125:126]
	v_fma_f64 v[79:80], v[79:80], s[6:7], v[127:128]
	v_fma_f64 v[89:90], v[69:70], s[4:5], v[157:158]
	v_fma_f64 v[91:92], v[71:72], s[4:5], -v[159:160]
	v_mul_f64 v[119:120], v[75:76], s[18:19]
	v_mul_f64 v[75:76], v[75:76], s[14:15]
	v_fma_f64 v[143:144], v[52:53], s[12:13], v[151:152]
	v_fma_f64 v[163:164], v[54:55], s[12:13], -v[153:154]
	v_fma_f64 v[30:31], v[52:53], s[12:13], -v[151:152]
	v_fma_f64 v[151:152], v[54:55], s[12:13], v[153:154]
	v_add_f64 v[34:35], v[101:102], v[34:35]
	v_add_f64 v[44:45], v[105:106], v[44:45]
	v_fma_f64 v[101:102], v[69:70], s[4:5], -v[157:158]
	v_fma_f64 v[105:106], v[71:72], s[4:5], v[159:160]
	v_add_f64 v[20:21], v[115:116], v[20:21]
	v_add_f64 v[107:108], v[117:118], v[107:108]
	v_fma_f64 v[115:116], v[69:70], s[0:1], v[83:84]
	v_fma_f64 v[117:118], v[71:72], s[0:1], -v[81:82]
	v_add_f64 v[0:1], v[48:49], v[0:1]
	v_add_f64 v[2:3], v[50:51], v[2:3]
	v_fma_f64 v[48:49], v[69:70], s[0:1], -v[83:84]
	v_fma_f64 v[50:51], v[71:72], s[0:1], v[81:82]
	v_add_f64 v[46:47], v[77:78], v[46:47]
	v_add_f64 v[77:78], v[79:80], v[85:86]
	v_fma_f64 v[69:70], v[69:70], s[10:11], -v[129:130]
	v_fma_f64 v[71:72], v[71:72], s[10:11], v[131:132]
	v_mul_f64 v[149:150], v[62:63], s[20:21]
	v_mul_f64 v[153:154], v[60:61], s[20:21]
	v_fma_f64 v[87:88], v[56:57], s[4:5], -v[137:138]
	v_fma_f64 v[99:100], v[58:59], s[4:5], v[139:140]
	v_add_f64 v[26:27], v[89:90], v[26:27]
	v_add_f64 v[32:33], v[91:92], v[32:33]
	v_fma_f64 v[79:80], v[56:57], s[16:17], v[119:120]
	v_fma_f64 v[81:82], v[58:59], s[16:17], -v[121:122]
	v_mul_f64 v[83:84], v[62:63], s[14:15]
	v_mul_f64 v[85:86], v[60:61], s[14:15]
	v_add_f64 v[44:45], v[105:106], v[44:45]
	v_fma_f64 v[91:92], v[58:59], s[16:17], v[121:122]
	v_mul_f64 v[62:63], v[62:63], s[24:25]
	v_mul_f64 v[60:61], v[60:61], s[24:25]
	v_fma_f64 v[40:41], v[56:57], s[12:13], -v[40:41]
	v_fma_f64 v[42:43], v[58:59], s[12:13], v[42:43]
	v_add_f64 v[0:1], v[48:49], v[0:1]
	v_add_f64 v[2:3], v[50:51], v[2:3]
	v_fma_f64 v[48:49], v[56:57], s[10:11], -v[75:76]
	v_fma_f64 v[50:51], v[58:59], s[10:11], v[73:74]
	v_add_f64 v[46:47], v[69:70], v[46:47]
	v_add_f64 v[69:70], v[71:72], v[77:78]
	;; [unrolled: 1-line block ×4, first 2 shown]
	v_fma_f64 v[89:90], v[56:57], s[16:17], -v[119:120]
	v_add_f64 v[20:21], v[115:116], v[20:21]
	v_add_f64 v[101:102], v[117:118], v[107:108]
	v_fma_f64 v[105:106], v[56:57], s[10:11], v[75:76]
	v_fma_f64 v[107:108], v[58:59], s[10:11], -v[73:74]
	v_fma_f64 v[73:74], v[52:53], s[0:1], v[149:150]
	v_fma_f64 v[75:76], v[54:55], s[0:1], -v[153:154]
	v_add_f64 v[56:57], v[87:88], v[16:17]
	v_add_f64 v[58:59], v[99:100], v[22:23]
	v_fma_f64 v[71:72], v[52:53], s[0:1], -v[149:150]
	v_add_f64 v[26:27], v[79:80], v[26:27]
	v_add_f64 v[77:78], v[81:82], v[32:33]
	v_fma_f64 v[79:80], v[52:53], s[10:11], v[83:84]
	v_fma_f64 v[81:82], v[54:55], s[10:11], -v[85:86]
	v_add_f64 v[87:88], v[91:92], v[44:45]
	v_fma_f64 v[44:45], v[52:53], s[10:11], -v[83:84]
	v_fma_f64 v[91:92], v[52:53], s[6:7], v[62:63]
	v_fma_f64 v[99:100], v[54:55], s[6:7], -v[60:61]
	v_add_f64 v[0:1], v[48:49], v[0:1]
	v_add_f64 v[2:3], v[50:51], v[2:3]
	v_fma_f64 v[48:49], v[52:53], s[6:7], -v[62:63]
	v_fma_f64 v[50:51], v[54:55], s[6:7], v[60:61]
	v_fma_f64 v[60:61], v[54:55], s[10:11], v[85:86]
	;; [unrolled: 1-line block ×3, first 2 shown]
	v_add_f64 v[85:86], v[40:41], v[46:47]
	v_add_f64 v[69:70], v[42:43], v[69:70]
	v_fma_f64 v[52:53], v[52:53], s[4:5], -v[36:37]
	v_fma_f64 v[54:55], v[54:55], s[4:5], v[38:39]
	v_add_f64 v[109:110], v[211:212], v[109:110]
	v_add_f64 v[34:35], v[89:90], v[34:35]
	v_add_f64 v[83:84], v[105:106], v[20:21]
	v_add_f64 v[89:90], v[107:108], v[101:102]
	v_add_f64 v[12:13], v[12:13], v[111:112]
	v_add_f64 v[20:21], v[143:144], v[141:142]
	v_add_f64 v[22:23], v[163:164], v[18:19]
	v_add_f64 v[16:17], v[103:104], v[24:25]
	v_add_f64 v[24:25], v[30:31], v[28:29]
	v_add_f64 v[28:29], v[73:74], v[133:134]
	v_add_f64 v[30:31], v[75:76], v[97:98]
	v_add_f64 v[36:37], v[79:80], v[26:27]
	v_add_f64 v[38:39], v[81:82], v[77:78]
	v_add_f64 v[32:33], v[71:72], v[56:57]
	v_add_f64 v[48:49], v[48:49], v[0:1]
	v_add_f64 v[50:51], v[50:51], v[2:3]
	v_add_f64 v[42:43], v[60:61], v[87:88]
	v_add_f64 v[26:27], v[151:152], v[95:96]
	v_add_f64 v[18:19], v[113:114], v[93:94]
	v_cmp_gt_u32_e64 s0, 39, v68
	v_add_f64 v[0:1], v[52:53], v[85:86]
	v_add_f64 v[2:3], v[54:55], v[69:70]
	;; [unrolled: 1-line block ×7, first 2 shown]
	v_mad_u32_u24 v52, 0xd0, v68, 0
	ds_write_b128 v52, v[4:7]
	ds_write_b128 v52, v[8:11] offset:16
	ds_write_b128 v52, v[12:15] offset:32
	;; [unrolled: 1-line block ×11, first 2 shown]
	v_mad_i32_i24 v69, 0xffffff40, v68, v52
	ds_write_b128 v52, v[0:3] offset:192
	s_waitcnt lgkmcnt(0)
	s_barrier
	buffer_gl0_inv
	ds_read_b128 v[4:7], v69
	ds_read_b128 v[8:11], v69 offset:2496
	ds_read_b128 v[32:35], v69 offset:16224
	;; [unrolled: 1-line block ×11, first 2 shown]
                                        ; implicit-def: $vgpr54_vgpr55
                                        ; implicit-def: $vgpr58_vgpr59
                                        ; implicit-def: $vgpr62_vgpr63
	s_and_saveexec_b32 s1, s0
	s_cbranch_execz .LBB0_13
; %bb.12:
	ds_read_b128 v[0:3], v69 offset:7488
	ds_read_b128 v[52:55], v69 offset:15600
	;; [unrolled: 1-line block ×4, first 2 shown]
.LBB0_13:
	s_or_b32 exec_lo, exec_lo, s1
	v_and_b32_e32 v71, 0xff, v68
	v_add_nc_u32_e32 v70, 0x9c, v68
	v_mov_b32_e32 v74, 0x4ec5
	v_add_nc_u32_e32 v73, 0x1d4, v68
	v_mov_b32_e32 v88, 3
	v_mul_lo_u16 v72, 0x4f, v71
	v_add_nc_u32_e32 v71, 0x138, v68
	v_mul_u32_u24_sdwa v75, v70, v74 dst_sel:DWORD dst_unused:UNUSED_PAD src0_sel:WORD_0 src1_sel:DWORD
	v_lshrrev_b16 v148, 10, v72
	v_mul_u32_u24_sdwa v76, v71, v74 dst_sel:DWORD dst_unused:UNUSED_PAD src0_sel:WORD_0 src1_sel:DWORD
	v_lshrrev_b32_e32 v149, 18, v75
	v_mul_u32_u24_sdwa v74, v73, v74 dst_sel:DWORD dst_unused:UNUSED_PAD src0_sel:WORD_0 src1_sel:DWORD
	v_mul_lo_u16 v77, v148, 13
	v_lshrrev_b32_e32 v150, 18, v76
	v_mul_lo_u16 v75, v149, 13
	v_lshrrev_b32_e32 v74, 18, v74
	v_sub_nc_u16 v151, v68, v77
	v_mul_lo_u16 v76, v150, 13
	v_sub_nc_u16 v152, v70, v75
	v_mul_lo_u16 v75, v74, 13
	v_mul_u32_u24_sdwa v77, v151, v88 dst_sel:DWORD dst_unused:UNUSED_PAD src0_sel:BYTE_0 src1_sel:DWORD
	v_sub_nc_u16 v153, v71, v76
	v_mul_u32_u24_sdwa v80, v152, v88 dst_sel:DWORD dst_unused:UNUSED_PAD src0_sel:WORD_0 src1_sel:DWORD
	v_sub_nc_u16 v75, v73, v75
	v_lshlrev_b32_e32 v84, 4, v77
	v_mul_u32_u24_sdwa v92, v153, v88 dst_sel:DWORD dst_unused:UNUSED_PAD src0_sel:WORD_0 src1_sel:DWORD
	v_lshlrev_b32_e32 v96, 4, v80
	v_mul_u32_u24_sdwa v104, v75, v88 dst_sel:DWORD dst_unused:UNUSED_PAD src0_sel:WORD_0 src1_sel:DWORD
	global_load_dwordx4 v[76:79], v84, s[8:9]
	v_lshlrev_b32_e32 v108, 4, v92
	s_clause 0x1
	global_load_dwordx4 v[80:83], v84, s[8:9] offset:16
	global_load_dwordx4 v[84:87], v84, s[8:9] offset:32
	v_lshlrev_b32_e32 v120, 4, v104
	s_clause 0x8
	global_load_dwordx4 v[88:91], v96, s[8:9]
	global_load_dwordx4 v[92:95], v96, s[8:9] offset:16
	global_load_dwordx4 v[96:99], v96, s[8:9] offset:32
	global_load_dwordx4 v[100:103], v108, s[8:9]
	global_load_dwordx4 v[104:107], v108, s[8:9] offset:16
	global_load_dwordx4 v[108:111], v108, s[8:9] offset:32
	;; [unrolled: 3-line block ×3, first 2 shown]
	s_waitcnt vmcnt(0) lgkmcnt(0)
	s_barrier
	buffer_gl0_inv
	v_mul_f64 v[124:125], v[46:47], v[78:79]
	v_mul_f64 v[78:79], v[44:45], v[78:79]
	;; [unrolled: 1-line block ×24, first 2 shown]
	v_fma_f64 v[44:45], v[44:45], v[76:77], v[124:125]
	v_fma_f64 v[46:47], v[46:47], v[76:77], -v[78:79]
	v_fma_f64 v[32:33], v[32:33], v[80:81], v[126:127]
	v_fma_f64 v[34:35], v[34:35], v[80:81], -v[82:83]
	;; [unrolled: 2-line block ×6, first 2 shown]
	v_fma_f64 v[20:21], v[20:21], v[100:101], v[136:137]
	v_fma_f64 v[24:25], v[24:25], v[104:105], v[138:139]
	v_fma_f64 v[26:27], v[26:27], v[104:105], -v[106:107]
	v_fma_f64 v[28:29], v[28:29], v[108:109], v[140:141]
	v_fma_f64 v[52:53], v[52:53], v[112:113], v[142:143]
	v_fma_f64 v[54:55], v[54:55], v[112:113], -v[114:115]
	v_fma_f64 v[56:57], v[56:57], v[116:117], v[144:145]
	v_fma_f64 v[58:59], v[58:59], v[116:117], -v[118:119]
	;; [unrolled: 2-line block ×3, first 2 shown]
	v_fma_f64 v[22:23], v[22:23], v[100:101], -v[102:103]
	v_fma_f64 v[30:31], v[30:31], v[108:109], -v[110:111]
	v_add_f64 v[76:77], v[4:5], -v[32:33]
	v_add_f64 v[78:79], v[6:7], -v[34:35]
	;; [unrolled: 1-line block ×4, first 2 shown]
	v_mul_u32_u24_e32 v94, 0x340, v149
	v_mul_u32_u24_e32 v95, 0x340, v150
	v_add_f64 v[48:49], v[8:9], -v[16:17]
	v_add_f64 v[50:51], v[10:11], -v[18:19]
	;; [unrolled: 1-line block ×4, first 2 shown]
	v_mov_b32_e32 v16, 4
	v_add_f64 v[80:81], v[12:13], -v[24:25]
	v_add_f64 v[82:83], v[14:15], -v[26:27]
	;; [unrolled: 1-line block ×3, first 2 shown]
	v_lshlrev_b32_sdwa v96, v16, v151 dst_sel:DWORD dst_unused:UNUSED_PAD src0_sel:DWORD src1_sel:BYTE_0
	v_add_f64 v[84:85], v[0:1], -v[56:57]
	v_add_f64 v[86:87], v[2:3], -v[58:59]
	;; [unrolled: 1-line block ×4, first 2 shown]
	v_lshlrev_b32_sdwa v97, v16, v152 dst_sel:DWORD dst_unused:UNUSED_PAD src0_sel:DWORD src1_sel:WORD_0
	v_add_f64 v[25:26], v[22:23], -v[30:31]
	v_fma_f64 v[4:5], v[4:5], 2.0, -v[76:77]
	v_fma_f64 v[6:7], v[6:7], 2.0, -v[78:79]
	v_fma_f64 v[29:30], v[44:45], 2.0, -v[32:33]
	v_fma_f64 v[44:45], v[46:47], 2.0, -v[34:35]
	v_add_f64 v[17:18], v[76:77], v[34:35]
	v_fma_f64 v[8:9], v[8:9], 2.0, -v[48:49]
	v_fma_f64 v[10:11], v[10:11], 2.0, -v[50:51]
	;; [unrolled: 1-line block ×7, first 2 shown]
	v_add_f64 v[19:20], v[78:79], -v[32:33]
	v_add_f64 v[27:28], v[82:83], -v[27:28]
	v_fma_f64 v[90:91], v[0:1], 2.0, -v[84:85]
	v_fma_f64 v[92:93], v[2:3], 2.0, -v[86:87]
	;; [unrolled: 1-line block ×4, first 2 shown]
	v_add_f64 v[12:13], v[84:85], v[58:59]
	v_fma_f64 v[46:47], v[22:23], 2.0, -v[25:26]
	v_add_f64 v[21:22], v[48:49], v[42:43]
	v_add_f64 v[23:24], v[50:51], -v[40:41]
	v_add_f64 v[29:30], v[4:5], -v[29:30]
	;; [unrolled: 1-line block ×3, first 2 shown]
	v_add_f64 v[25:26], v[80:81], v[25:26]
	v_mov_b32_e32 v52, 0x340
	v_fma_f64 v[41:42], v[76:77], 2.0, -v[17:18]
	v_add_f64 v[33:34], v[8:9], -v[36:37]
	v_add_f64 v[35:36], v[10:11], -v[38:39]
	v_mul_u32_u24_sdwa v63, v148, v52 dst_sel:DWORD dst_unused:UNUSED_PAD src0_sel:WORD_0 src1_sel:DWORD
	v_add_f64 v[37:38], v[61:62], -v[14:15]
	v_add_f64 v[14:15], v[86:87], -v[56:57]
	v_fma_f64 v[43:44], v[78:79], 2.0, -v[19:20]
	v_fma_f64 v[59:60], v[82:83], 2.0, -v[27:28]
	v_add_f64 v[0:1], v[90:91], -v[0:1]
	v_add_f64 v[2:3], v[92:93], -v[2:3]
	;; [unrolled: 1-line block ×3, first 2 shown]
	v_fma_f64 v[45:46], v[48:49], 2.0, -v[21:22]
	v_fma_f64 v[47:48], v[50:51], 2.0, -v[23:24]
	;; [unrolled: 1-line block ×10, first 2 shown]
	v_lshlrev_b32_sdwa v61, v16, v153 dst_sel:DWORD dst_unused:UNUSED_PAD src0_sel:DWORD src1_sel:WORD_0
	v_add3_u32 v62, 0, v63, v96
	v_add3_u32 v63, 0, v94, v97
	v_fma_f64 v[4:5], v[90:91], 2.0, -v[0:1]
	v_fma_f64 v[6:7], v[92:93], 2.0, -v[2:3]
	v_add3_u32 v61, 0, v95, v61
	v_fma_f64 v[78:79], v[88:89], 2.0, -v[39:40]
	ds_write_b128 v62, v[17:20] offset:624
	ds_write_b128 v62, v[41:44] offset:208
	;; [unrolled: 1-line block ×3, first 2 shown]
	ds_write_b128 v62, v[49:52]
	ds_write_b128 v63, v[53:56]
	ds_write_b128 v63, v[45:48] offset:208
	ds_write_b128 v63, v[33:36] offset:416
	;; [unrolled: 1-line block ×3, first 2 shown]
	ds_write_b128 v61, v[76:79]
	ds_write_b128 v61, v[57:60] offset:208
	ds_write_b128 v61, v[37:40] offset:416
	;; [unrolled: 1-line block ×3, first 2 shown]
	s_and_saveexec_b32 s1, s0
	s_cbranch_execz .LBB0_15
; %bb.14:
	v_mul_lo_u16 v17, v74, 52
	v_lshlrev_b32_sdwa v18, v16, v75 dst_sel:DWORD dst_unused:UNUSED_PAD src0_sel:DWORD src1_sel:WORD_0
	v_lshlrev_b32_sdwa v16, v16, v17 dst_sel:DWORD dst_unused:UNUSED_PAD src0_sel:DWORD src1_sel:WORD_0
	v_add3_u32 v16, 0, v18, v16
	ds_write_b128 v16, v[4:7]
	ds_write_b128 v16, v[8:11] offset:208
	ds_write_b128 v16, v[0:3] offset:416
	;; [unrolled: 1-line block ×3, first 2 shown]
.LBB0_15:
	s_or_b32 exec_lo, exec_lo, s1
	v_lshl_add_u32 v60, v68, 4, 0
	s_waitcnt lgkmcnt(0)
	s_barrier
	buffer_gl0_inv
	ds_read_b128 v[20:23], v69
	ds_read_b128 v[12:15], v69 offset:2496
	ds_read_b128 v[32:35], v69 offset:10816
	ds_read_b128 v[16:19], v69 offset:4992
	ds_read_b128 v[36:39], v69 offset:13312
	ds_read_b128 v[28:31], v69 offset:15808
	ds_read_b128 v[52:55], v69 offset:24128
	ds_read_b128 v[40:43], v69 offset:26624
	ds_read_b128 v[56:59], v69 offset:21632
	ds_read_b128 v[44:47], v69 offset:18304
	ds_read_b128 v[24:27], v60 offset:7488
	ds_read_b128 v[48:51], v69 offset:29120
	v_cmp_gt_u32_e64 s0, 52, v68
	s_and_saveexec_b32 s1, s0
	s_cbranch_execz .LBB0_17
; %bb.16:
	ds_read_b128 v[4:7], v60 offset:9984
	ds_read_b128 v[8:11], v69 offset:20800
	;; [unrolled: 1-line block ×3, first 2 shown]
.LBB0_17:
	s_or_b32 exec_lo, exec_lo, s1
	v_mov_b32_e32 v61, 0x4ec5
	v_lshrrev_b16 v116, 12, v72
	v_mov_b32_e32 v86, 5
	s_mov_b32 s4, 0xe8584caa
	s_mov_b32 s5, 0xbfebb67a
	v_mul_u32_u24_sdwa v62, v70, v61 dst_sel:DWORD dst_unused:UNUSED_PAD src0_sel:WORD_0 src1_sel:DWORD
	v_mul_u32_u24_sdwa v63, v71, v61 dst_sel:DWORD dst_unused:UNUSED_PAD src0_sel:WORD_0 src1_sel:DWORD
	;; [unrolled: 1-line block ×3, first 2 shown]
	s_mov_b32 s7, 0x3febb67a
	s_mov_b32 s6, s4
	v_lshrrev_b32_e32 v117, 20, v62
	v_mul_lo_u16 v62, v116, 52
	v_lshrrev_b32_e32 v118, 20, v63
	v_lshrrev_b32_e32 v120, 20, v72
	v_mul_lo_u16 v63, v117, 52
	v_sub_nc_u16 v119, v68, v62
	v_mul_lo_u16 v62, v118, 52
	v_sub_nc_u16 v121, v70, v63
	v_lshlrev_b32_sdwa v63, v86, v119 dst_sel:DWORD dst_unused:UNUSED_PAD src0_sel:DWORD src1_sel:BYTE_0
	v_mul_lo_u16 v70, v120, 52
	v_sub_nc_u16 v122, v71, v62
	s_clause 0x1
	global_load_dwordx4 v[74:77], v63, s[8:9] offset:624
	global_load_dwordx4 v[78:81], v63, s[8:9] offset:640
	v_lshlrev_b32_sdwa v62, v86, v121 dst_sel:DWORD dst_unused:UNUSED_PAD src0_sel:DWORD src1_sel:WORD_0
	v_sub_nc_u16 v123, v73, v70
	v_lshlrev_b32_sdwa v63, v86, v122 dst_sel:DWORD dst_unused:UNUSED_PAD src0_sel:DWORD src1_sel:WORD_0
	s_clause 0x1
	global_load_dwordx4 v[70:73], v62, s[8:9] offset:624
	global_load_dwordx4 v[82:85], v62, s[8:9] offset:640
	v_lshlrev_b32_sdwa v62, v86, v123 dst_sel:DWORD dst_unused:UNUSED_PAD src0_sel:DWORD src1_sel:WORD_0
	s_clause 0x3
	global_load_dwordx4 v[86:89], v63, s[8:9] offset:624
	global_load_dwordx4 v[90:93], v63, s[8:9] offset:640
	global_load_dwordx4 v[94:97], v62, s[8:9] offset:624
	global_load_dwordx4 v[98:101], v62, s[8:9] offset:640
	s_waitcnt vmcnt(0) lgkmcnt(0)
	s_barrier
	buffer_gl0_inv
	v_mul_f64 v[62:63], v[34:35], v[76:77]
	v_mul_f64 v[102:103], v[58:59], v[80:81]
	;; [unrolled: 1-line block ×16, first 2 shown]
	v_fma_f64 v[32:33], v[32:33], v[74:75], v[62:63]
	v_fma_f64 v[56:57], v[56:57], v[78:79], v[102:103]
	v_fma_f64 v[34:35], v[34:35], v[74:75], -v[76:77]
	v_fma_f64 v[58:59], v[58:59], v[78:79], -v[80:81]
	v_mov_b32_e32 v62, 0x9c0
	v_fma_f64 v[36:37], v[36:37], v[70:71], v[104:105]
	v_fma_f64 v[52:53], v[52:53], v[82:83], v[106:107]
	v_fma_f64 v[38:39], v[38:39], v[70:71], -v[72:73]
	v_fma_f64 v[54:55], v[54:55], v[82:83], -v[84:85]
	v_fma_f64 v[28:29], v[28:29], v[86:87], v[108:109]
	v_fma_f64 v[40:41], v[40:41], v[90:91], v[110:111]
	v_fma_f64 v[30:31], v[30:31], v[86:87], -v[88:89]
	v_fma_f64 v[42:43], v[42:43], v[90:91], -v[92:93]
	v_fma_f64 v[44:45], v[44:45], v[94:95], v[112:113]
	v_fma_f64 v[48:49], v[48:49], v[98:99], v[114:115]
	v_fma_f64 v[46:47], v[46:47], v[94:95], -v[96:97]
	v_fma_f64 v[50:51], v[50:51], v[98:99], -v[100:101]
	v_mul_u32_u24_sdwa v111, v116, v62 dst_sel:DWORD dst_unused:UNUSED_PAD src0_sel:WORD_0 src1_sel:DWORD
	v_mov_b32_e32 v110, 4
	v_mul_u32_u24_e32 v113, 0x9c0, v117
	v_mul_u32_u24_e32 v114, 0x9c0, v118
	v_add_f64 v[78:79], v[20:21], v[32:33]
	v_add_f64 v[62:63], v[32:33], v[56:57]
	v_add_f64 v[88:89], v[32:33], -v[56:57]
	v_add_f64 v[70:71], v[34:35], v[58:59]
	v_add_f64 v[82:83], v[34:35], -v[58:59]
	v_add_f64 v[34:35], v[22:23], v[34:35]
	v_add_f64 v[32:33], v[12:13], v[36:37]
	;; [unrolled: 1-line block ×7, first 2 shown]
	v_add_f64 v[38:39], v[38:39], -v[54:55]
	v_add_f64 v[80:81], v[30:31], v[42:43]
	v_add_f64 v[100:101], v[36:37], -v[52:53]
	v_add_f64 v[84:85], v[44:45], v[48:49]
	v_add_f64 v[94:95], v[18:19], v[30:31]
	;; [unrolled: 1-line block ×3, first 2 shown]
	v_add_f64 v[102:103], v[30:31], -v[42:43]
	v_add_f64 v[104:105], v[28:29], -v[40:41]
	v_add_f64 v[96:97], v[24:25], v[44:45]
	v_add_f64 v[98:99], v[26:27], v[46:47]
	v_add_f64 v[106:107], v[46:47], -v[50:51]
	v_fma_f64 v[62:63], v[62:63], -0.5, v[20:21]
	v_add_f64 v[108:109], v[44:45], -v[48:49]
	v_fma_f64 v[70:71], v[70:71], -0.5, v[22:23]
	v_lshlrev_b32_sdwa v112, v110, v119 dst_sel:DWORD dst_unused:UNUSED_PAD src0_sel:DWORD src1_sel:BYTE_0
	v_mul_u32_u24_e32 v115, 0x9c0, v120
	v_fma_f64 v[72:73], v[72:73], -0.5, v[12:13]
	v_add_f64 v[12:13], v[78:79], v[56:57]
	v_fma_f64 v[74:75], v[74:75], -0.5, v[14:15]
	v_add_f64 v[14:15], v[34:35], v[58:59]
	;; [unrolled: 2-line block ×6, first 2 shown]
	v_add_f64 v[24:25], v[96:97], v[48:49]
	v_add_f64 v[26:27], v[98:99], v[50:51]
	v_fma_f64 v[28:29], v[82:83], s[4:5], v[62:63]
	v_fma_f64 v[32:33], v[82:83], s[6:7], v[62:63]
	;; [unrolled: 1-line block ×4, first 2 shown]
	v_lshlrev_b32_sdwa v63, v110, v121 dst_sel:DWORD dst_unused:UNUSED_PAD src0_sel:DWORD src1_sel:WORD_0
	v_add3_u32 v62, 0, v111, v112
	v_fma_f64 v[36:37], v[38:39], s[4:5], v[72:73]
	v_fma_f64 v[40:41], v[38:39], s[6:7], v[72:73]
	;; [unrolled: 1-line block ×12, first 2 shown]
	v_lshlrev_b32_sdwa v70, v110, v122 dst_sel:DWORD dst_unused:UNUSED_PAD src0_sel:DWORD src1_sel:WORD_0
	v_lshlrev_b32_sdwa v71, v110, v123 dst_sel:DWORD dst_unused:UNUSED_PAD src0_sel:DWORD src1_sel:WORD_0
	v_add3_u32 v63, 0, v113, v63
	v_add3_u32 v70, 0, v114, v70
	;; [unrolled: 1-line block ×3, first 2 shown]
	ds_write_b128 v62, v[12:15]
	ds_write_b128 v62, v[28:31] offset:832
	ds_write_b128 v62, v[32:35] offset:1664
	ds_write_b128 v63, v[16:19]
	ds_write_b128 v63, v[36:39] offset:832
	ds_write_b128 v63, v[40:43] offset:1664
	;; [unrolled: 3-line block ×4, first 2 shown]
	s_and_saveexec_b32 s1, s0
	s_cbranch_execz .LBB0_19
; %bb.18:
	v_add_nc_u32_e32 v12, 0x270, v68
	v_mul_u32_u24_sdwa v13, v12, v61 dst_sel:DWORD dst_unused:UNUSED_PAD src0_sel:WORD_0 src1_sel:DWORD
	v_lshrrev_b32_e32 v13, 20, v13
	v_mul_lo_u16 v13, v13, 52
	v_sub_nc_u16 v12, v12, v13
	v_and_b32_e32 v24, 0xffff, v12
	v_lshlrev_b32_e32 v16, 5, v24
	s_clause 0x1
	global_load_dwordx4 v[12:15], v16, s[8:9] offset:624
	global_load_dwordx4 v[16:19], v16, s[8:9] offset:640
	s_waitcnt vmcnt(1)
	v_mul_f64 v[20:21], v[8:9], v[14:15]
	s_waitcnt vmcnt(0)
	v_mul_f64 v[22:23], v[0:1], v[18:19]
	v_mul_f64 v[14:15], v[10:11], v[14:15]
	;; [unrolled: 1-line block ×3, first 2 shown]
	v_fma_f64 v[10:11], v[10:11], v[12:13], -v[20:21]
	v_fma_f64 v[2:3], v[2:3], v[16:17], -v[22:23]
	v_fma_f64 v[8:9], v[8:9], v[12:13], v[14:15]
	v_fma_f64 v[0:1], v[0:1], v[16:17], v[18:19]
	v_add_f64 v[18:19], v[6:7], v[10:11]
	v_add_f64 v[12:13], v[10:11], v[2:3]
	v_add_f64 v[20:21], v[10:11], -v[2:3]
	v_add_f64 v[14:15], v[8:9], v[0:1]
	v_add_f64 v[16:17], v[8:9], -v[0:1]
	v_add_f64 v[8:9], v[4:5], v[8:9]
	v_add_f64 v[2:3], v[18:19], v[2:3]
	v_fma_f64 v[12:13], v[12:13], -0.5, v[6:7]
	v_fma_f64 v[4:5], v[14:15], -0.5, v[4:5]
	v_add_f64 v[0:1], v[8:9], v[0:1]
	v_fma_f64 v[10:11], v[16:17], s[6:7], v[12:13]
	v_fma_f64 v[6:7], v[16:17], s[4:5], v[12:13]
	v_fma_f64 v[8:9], v[20:21], s[4:5], v[4:5]
	v_fma_f64 v[4:5], v[20:21], s[6:7], v[4:5]
	v_lshl_add_u32 v12, v24, 4, 0
	ds_write_b128 v12, v[0:3] offset:29952
	ds_write_b128 v12, v[8:11] offset:30784
	;; [unrolled: 1-line block ×3, first 2 shown]
.LBB0_19:
	s_or_b32 exec_lo, exec_lo, s1
	s_waitcnt lgkmcnt(0)
	s_barrier
	buffer_gl0_inv
	s_and_saveexec_b32 s0, vcc_lo
	s_cbranch_execz .LBB0_21
; %bb.20:
	v_mul_u32_u24_e32 v0, 12, v68
	s_mov_b32 s22, 0x42a4c3d2
	s_mov_b32 s23, 0x3fea55e2
	;; [unrolled: 1-line block ×4, first 2 shown]
	v_lshlrev_b32_e32 v0, 4, v0
	s_mov_b32 s10, 0x1ea71119
	s_mov_b32 s11, 0x3fe22d96
	;; [unrolled: 1-line block ×4, first 2 shown]
	v_add_co_u32 v42, s0, s8, v0
	v_add_co_ci_u32_e64 v43, null, s9, 0, s0
	s_mov_b32 s8, 0x2ef20147
	v_add_co_u32 v12, vcc_lo, 0x930, v42
	v_add_co_ci_u32_e32 v13, vcc_lo, 0, v43, vcc_lo
	v_add_co_u32 v36, vcc_lo, 0x800, v42
	v_add_co_ci_u32_e32 v37, vcc_lo, 0, v43, vcc_lo
	s_clause 0x3
	global_load_dwordx4 v[0:3], v[12:13], off offset:16
	global_load_dwordx4 v[4:7], v[12:13], off offset:32
	;; [unrolled: 1-line block ×4, first 2 shown]
	v_add_co_u32 v56, vcc_lo, 0x8f0, v42
	v_add_co_ci_u32_e32 v57, vcc_lo, 0, v43, vcc_lo
	v_add_co_u32 v70, vcc_lo, 0x970, v42
	v_add_co_ci_u32_e32 v71, vcc_lo, 0, v43, vcc_lo
	global_load_dwordx4 v[16:19], v[56:57], off offset:48
	ds_read_b128 v[22:25], v69 offset:14976
	ds_read_b128 v[28:31], v69 offset:17472
	;; [unrolled: 1-line block ×4, first 2 shown]
	global_load_dwordx4 v[44:47], v[36:37], off offset:368
	ds_read_b128 v[52:55], v69 offset:22464
	s_mov_b32 s9, 0xbfedeba7
	s_mov_b32 s4, 0x4bc48dbf
	;; [unrolled: 1-line block ×21, first 2 shown]
	s_waitcnt vmcnt(5) lgkmcnt(4)
	v_mul_f64 v[20:21], v[2:3], v[24:25]
	v_mul_f64 v[2:3], v[22:23], v[2:3]
	s_waitcnt vmcnt(4) lgkmcnt(3)
	v_mul_f64 v[38:39], v[6:7], v[30:31]
	v_mul_f64 v[6:7], v[28:29], v[6:7]
	;; [unrolled: 3-line block ×3, first 2 shown]
	v_fma_f64 v[22:23], v[0:1], v[22:23], v[20:21]
	v_fma_f64 v[26:27], v[0:1], v[24:25], -v[2:3]
	ds_read_b128 v[0:3], v69 offset:19968
	v_fma_f64 v[20:21], v[4:5], v[28:29], v[38:39]
	v_fma_f64 v[24:25], v[4:5], v[30:31], -v[6:7]
	global_load_dwordx4 v[4:7], v[36:37], off offset:240
	v_fma_f64 v[36:37], v[8:9], v[32:33], v[40:41]
	v_fma_f64 v[38:39], v[8:9], v[34:35], -v[10:11]
	ds_read_b128 v[8:11], v60 offset:9984
	s_waitcnt vmcnt(3) lgkmcnt(1)
	v_mul_f64 v[28:29], v[14:15], v[2:3]
	v_mul_f64 v[14:15], v[0:1], v[14:15]
	v_fma_f64 v[28:29], v[12:13], v[0:1], v[28:29]
	v_fma_f64 v[30:31], v[12:13], v[2:3], -v[14:15]
	s_waitcnt vmcnt(2) lgkmcnt(0)
	v_mul_f64 v[12:13], v[18:19], v[10:11]
	v_mul_f64 v[14:15], v[8:9], v[18:19]
	global_load_dwordx4 v[0:3], v[70:71], off offset:16
	v_add_f64 v[90:91], v[36:37], -v[28:29]
	v_add_f64 v[76:77], v[38:39], v[30:31]
	v_fma_f64 v[40:41], v[16:17], v[8:9], v[12:13]
	v_fma_f64 v[42:43], v[16:17], v[10:11], -v[14:15]
	s_clause 0x1
	global_load_dwordx4 v[12:15], v[56:57], off offset:32
	global_load_dwordx4 v[16:19], v[56:57], off offset:16
	s_waitcnt vmcnt(4)
	v_mul_f64 v[8:9], v[46:47], v[54:55]
	v_mul_f64 v[10:11], v[52:53], v[46:47]
	;; [unrolled: 1-line block ×3, first 2 shown]
	v_fma_f64 v[32:33], v[44:45], v[52:53], v[8:9]
	v_fma_f64 v[34:35], v[44:45], v[54:55], -v[10:11]
	ds_read_b128 v[44:47], v60 offset:7488
	ds_read_b128 v[8:11], v69 offset:29952
	v_add_f64 v[94:95], v[40:41], -v[32:33]
	v_add_f64 v[86:87], v[42:43], v[34:35]
	v_add_f64 v[92:93], v[42:43], -v[34:35]
	v_add_f64 v[88:89], v[40:41], v[32:33]
	v_mul_f64 v[104:105], v[94:95], s[26:27]
	v_mul_f64 v[106:107], v[92:93], s[26:27]
	s_waitcnt vmcnt(1) lgkmcnt(1)
	v_mul_f64 v[52:53], v[14:15], v[46:47]
	v_mul_f64 v[14:15], v[44:45], v[14:15]
	v_fma_f64 v[52:53], v[12:13], v[44:45], v[52:53]
	v_fma_f64 v[54:55], v[12:13], v[46:47], -v[14:15]
	ds_read_b128 v[12:15], v69 offset:24960
	ds_read_b128 v[60:63], v69 offset:27456
	s_waitcnt lgkmcnt(1)
	v_mul_f64 v[44:45], v[2:3], v[14:15]
	v_mul_f64 v[2:3], v[12:13], v[2:3]
	v_fma_f64 v[44:45], v[0:1], v[12:13], v[44:45]
	v_fma_f64 v[46:47], v[0:1], v[14:15], -v[2:3]
	s_waitcnt vmcnt(0)
	v_mul_f64 v[0:1], v[18:19], v[50:51]
	v_add_f64 v[82:83], v[52:53], -v[44:45]
	v_add_f64 v[78:79], v[54:55], v[46:47]
	v_fma_f64 v[56:57], v[16:17], v[48:49], v[0:1]
	v_mul_f64 v[0:1], v[48:49], v[18:19]
	v_add_f64 v[84:85], v[54:55], -v[46:47]
	v_add_f64 v[80:81], v[52:53], v[44:45]
	v_mul_f64 v[100:101], v[82:83], s[4:5]
	v_fma_f64 v[58:59], v[16:17], v[50:51], -v[0:1]
	s_clause 0x1
	global_load_dwordx4 v[0:3], v[70:71], off offset:32
	global_load_dwordx4 v[12:15], v[70:71], off offset:48
	v_mul_f64 v[102:103], v[84:85], s[4:5]
	v_add_f64 v[70:71], v[38:39], -v[30:31]
	v_mul_f64 v[210:211], v[84:85], s[12:13]
	v_mul_f64 v[110:111], v[70:71], s[24:25]
	;; [unrolled: 1-line block ×3, first 2 shown]
	s_waitcnt vmcnt(1) lgkmcnt(0)
	v_mul_f64 v[16:17], v[2:3], v[62:63]
	v_mul_f64 v[2:3], v[60:61], v[2:3]
	v_fma_f64 v[48:49], v[0:1], v[60:61], v[16:17]
	v_fma_f64 v[50:51], v[0:1], v[62:63], -v[2:3]
	ds_read_b128 v[16:19], v69 offset:2496
	ds_read_b128 v[0:3], v69
	v_add_f64 v[62:63], v[36:37], v[28:29]
	s_waitcnt lgkmcnt(1)
	v_mul_f64 v[60:61], v[6:7], v[18:19]
	v_mul_f64 v[6:7], v[16:17], v[6:7]
	v_add_f64 v[74:75], v[56:57], -v[48:49]
	v_add_f64 v[72:73], v[58:59], -v[50:51]
	v_add_f64 v[68:69], v[56:57], v[48:49]
	v_fma_f64 v[116:117], v[4:5], v[16:17], v[60:61]
	v_fma_f64 v[118:119], v[4:5], v[18:19], -v[6:7]
	s_waitcnt vmcnt(0)
	v_mul_f64 v[4:5], v[14:15], v[10:11]
	v_mul_f64 v[96:97], v[74:75], s[8:9]
	;; [unrolled: 1-line block ×3, first 2 shown]
	v_add_f64 v[60:61], v[22:23], -v[20:21]
	v_add_f64 v[18:19], v[26:27], v[24:25]
	v_mul_f64 v[158:159], v[74:75], s[28:29]
	v_mul_f64 v[160:161], v[72:73], s[28:29]
	;; [unrolled: 1-line block ×4, first 2 shown]
	s_mov_b32 s27, 0x3fcea1e5
	s_mov_b32 s26, s4
	v_mul_f64 v[202:203], v[90:91], s[26:27]
	v_mul_f64 v[204:205], v[70:71], s[26:27]
	;; [unrolled: 1-line block ×4, first 2 shown]
	s_waitcnt lgkmcnt(0)
	v_add_f64 v[190:191], v[116:117], v[0:1]
	v_add_f64 v[188:189], v[2:3], v[118:119]
	v_fma_f64 v[16:17], v[12:13], v[8:9], v[4:5]
	v_mul_f64 v[4:5], v[8:9], v[14:15]
	v_add_f64 v[14:15], v[26:27], -v[24:25]
	v_mul_f64 v[112:113], v[60:61], s[28:29]
	v_mul_f64 v[206:207], v[60:61], s[22:23]
	;; [unrolled: 1-line block ×4, first 2 shown]
	v_add_f64 v[56:57], v[56:57], v[190:191]
	v_add_f64 v[126:127], v[116:117], -v[16:17]
	v_fma_f64 v[8:9], v[12:13], v[10:11], -v[4:5]
	v_add_f64 v[10:11], v[58:59], v[50:51]
	v_add_f64 v[120:121], v[116:117], v[16:17]
	v_fma_f64 v[12:13], v[68:69], s[6:7], v[98:99]
	v_mul_f64 v[114:115], v[14:15], s[28:29]
	v_mul_f64 v[208:209], v[14:15], s[22:23]
	;; [unrolled: 1-line block ×4, first 2 shown]
	v_add_f64 v[58:59], v[58:59], v[188:189]
	v_add_f64 v[52:53], v[52:53], v[56:57]
	v_mul_f64 v[56:57], v[74:75], s[12:13]
	v_mul_f64 v[128:129], v[126:127], s[12:13]
	v_add_f64 v[124:125], v[118:119], v[8:9]
	v_add_f64 v[130:131], v[118:119], -v[8:9]
	v_fma_f64 v[6:7], v[10:11], s[6:7], -v[96:97]
	v_mul_f64 v[162:163], v[126:127], s[4:5]
	v_mul_f64 v[164:165], v[126:127], s[16:17]
	;; [unrolled: 1-line block ×3, first 2 shown]
	v_add_f64 v[54:55], v[54:55], v[58:59]
	v_add_f64 v[40:41], v[40:41], v[52:53]
	v_fma_f64 v[58:59], v[10:11], s[10:11], -v[56:57]
	v_fma_f64 v[4:5], v[124:125], s[10:11], -v[128:129]
	v_mul_f64 v[122:123], v[130:131], s[12:13]
	v_fma_f64 v[128:129], v[124:125], s[10:11], v[128:129]
	v_fma_f64 v[168:169], v[124:125], s[0:1], -v[162:163]
	v_fma_f64 v[162:163], v[124:125], s[0:1], v[162:163]
	v_fma_f64 v[170:171], v[124:125], s[14:15], -v[164:165]
	;; [unrolled: 2-line block ×3, first 2 shown]
	v_fma_f64 v[166:167], v[124:125], s[6:7], v[166:167]
	v_mul_f64 v[176:177], v[130:131], s[16:17]
	v_mul_f64 v[178:179], v[130:131], s[8:9]
	v_add_f64 v[42:43], v[42:43], v[54:55]
	v_add_f64 v[36:37], v[36:37], v[40:41]
	v_mul_f64 v[40:41], v[94:95], s[8:9]
	v_add_f64 v[4:5], v[2:3], v[4:5]
	v_add_f64 v[168:169], v[2:3], v[168:169]
	;; [unrolled: 1-line block ×6, first 2 shown]
	v_fma_f64 v[182:183], v[120:121], s[14:15], v[176:177]
	v_fma_f64 v[176:177], v[120:121], s[14:15], -v[176:177]
	v_fma_f64 v[184:185], v[120:121], s[6:7], v[178:179]
	v_fma_f64 v[178:179], v[120:121], s[6:7], -v[178:179]
	v_add_f64 v[38:39], v[38:39], v[42:43]
	v_fma_f64 v[42:43], v[86:87], s[6:7], -v[40:41]
	v_fma_f64 v[40:41], v[86:87], s[6:7], v[40:41]
	v_add_f64 v[4:5], v[6:7], v[4:5]
	v_fma_f64 v[6:7], v[120:121], s[10:11], v[122:123]
	v_fma_f64 v[122:123], v[120:121], s[10:11], -v[122:123]
	v_add_f64 v[176:177], v[0:1], v[176:177]
	v_add_f64 v[118:119], v[0:1], v[184:185]
	;; [unrolled: 1-line block ×7, first 2 shown]
	v_fma_f64 v[12:13], v[78:79], s[0:1], -v[100:101]
	v_add_f64 v[24:25], v[30:31], v[24:25]
	v_add_f64 v[4:5], v[12:13], v[4:5]
	v_fma_f64 v[12:13], v[80:81], s[0:1], v[102:103]
	v_add_f64 v[24:25], v[34:35], v[24:25]
	v_add_f64 v[6:7], v[12:13], v[6:7]
	v_fma_f64 v[12:13], v[86:87], s[14:15], -v[104:105]
	v_add_f64 v[24:25], v[46:47], v[24:25]
	v_add_f64 v[4:5], v[12:13], v[4:5]
	v_fma_f64 v[12:13], v[88:89], s[14:15], v[106:107]
	v_add_f64 v[24:25], v[50:51], v[24:25]
	v_add_f64 v[6:7], v[12:13], v[6:7]
	v_fma_f64 v[12:13], v[76:77], s[18:19], -v[108:109]
	v_add_f64 v[24:25], v[8:9], v[24:25]
	v_add_f64 v[4:5], v[12:13], v[4:5]
	v_fma_f64 v[12:13], v[62:63], s[18:19], v[110:111]
	v_add_f64 v[132:133], v[12:13], v[6:7]
	v_fma_f64 v[6:7], v[18:19], s[20:21], -v[112:113]
	v_add_f64 v[12:13], v[22:23], v[20:21]
	v_add_f64 v[22:23], v[22:23], v[36:37]
	v_mul_f64 v[36:37], v[92:93], s[8:9]
	v_add_f64 v[6:7], v[6:7], v[4:5]
	v_fma_f64 v[4:5], v[12:13], s[20:21], v[114:115]
	v_add_f64 v[20:21], v[20:21], v[22:23]
	v_mul_f64 v[22:23], v[90:91], s[16:17]
	v_fma_f64 v[38:39], v[88:89], s[6:7], v[36:37]
	v_fma_f64 v[36:37], v[88:89], s[6:7], -v[36:37]
	v_add_f64 v[4:5], v[4:5], v[132:133]
	v_add_co_u32 v132, vcc_lo, s2, v64
	v_add_co_ci_u32_e32 v133, vcc_lo, s3, v65, vcc_lo
	s_mov_b32 s3, 0xbfefc445
	s_mov_b32 s2, s24
	v_lshlrev_b64 v[64:65], 4, v[66:67]
	v_mul_f64 v[150:151], v[126:127], s[2:3]
	v_mul_f64 v[152:153], v[130:131], s[2:3]
	;; [unrolled: 1-line block ×5, first 2 shown]
	v_add_co_u32 v64, vcc_lo, v132, v64
	v_add_co_ci_u32_e32 v65, vcc_lo, v133, v65, vcc_lo
	v_add_f64 v[20:21], v[28:29], v[20:21]
	v_add_co_u32 v66, vcc_lo, 0x1000, v64
	v_add_co_ci_u32_e32 v67, vcc_lo, 0, v65, vcc_lo
	v_mul_f64 v[28:29], v[70:71], s[16:17]
	v_fma_f64 v[26:27], v[76:77], s[14:15], -v[22:23]
	v_fma_f64 v[22:23], v[76:77], s[14:15], v[22:23]
	global_store_dwordx4 v[66:67], v[4:7], off offset:896
	v_fma_f64 v[4:5], v[124:125], s[18:19], -v[150:151]
	v_fma_f64 v[150:151], v[124:125], s[18:19], v[150:151]
	v_fma_f64 v[54:55], v[80:81], s[18:19], v[52:53]
	v_fma_f64 v[52:53], v[80:81], s[18:19], -v[52:53]
	v_add_f64 v[20:21], v[32:33], v[20:21]
	v_mul_f64 v[32:33], v[60:61], s[4:5]
	v_fma_f64 v[30:31], v[62:63], s[14:15], v[28:29]
	v_fma_f64 v[28:29], v[62:63], s[14:15], -v[28:29]
	v_add_f64 v[6:7], v[2:3], v[4:5]
	v_mul_f64 v[4:5], v[74:75], s[4:5]
	v_add_f64 v[150:151], v[2:3], v[150:151]
	v_add_f64 v[20:21], v[44:45], v[20:21]
	v_fma_f64 v[34:35], v[18:19], s[0:1], -v[32:33]
	v_fma_f64 v[66:67], v[10:11], s[0:1], -v[4:5]
	v_fma_f64 v[4:5], v[10:11], s[0:1], v[4:5]
	v_add_f64 v[132:133], v[66:67], v[6:7]
	v_fma_f64 v[6:7], v[120:121], s[18:19], v[152:153]
	v_fma_f64 v[152:153], v[120:121], s[18:19], -v[152:153]
	v_add_f64 v[4:5], v[4:5], v[150:151]
	v_add_f64 v[66:67], v[0:1], v[6:7]
	v_mul_f64 v[6:7], v[72:73], s[4:5]
	v_add_f64 v[152:153], v[0:1], v[152:153]
	v_fma_f64 v[134:135], v[68:69], s[0:1], v[6:7]
	v_fma_f64 v[6:7], v[68:69], s[0:1], -v[6:7]
	v_add_f64 v[134:135], v[134:135], v[66:67]
	v_mul_f64 v[66:67], v[82:83], s[30:31]
	v_add_f64 v[6:7], v[6:7], v[152:153]
	v_fma_f64 v[136:137], v[78:79], s[6:7], -v[66:67]
	v_fma_f64 v[66:67], v[78:79], s[6:7], v[66:67]
	v_add_f64 v[136:137], v[136:137], v[132:133]
	v_mul_f64 v[132:133], v[84:85], s[30:31]
	v_add_f64 v[4:5], v[66:67], v[4:5]
	v_fma_f64 v[138:139], v[80:81], s[6:7], v[132:133]
	v_fma_f64 v[66:67], v[80:81], s[6:7], -v[132:133]
	v_add_f64 v[138:139], v[138:139], v[134:135]
	v_mul_f64 v[134:135], v[94:95], s[28:29]
	v_add_f64 v[6:7], v[66:67], v[6:7]
	v_fma_f64 v[140:141], v[86:87], s[20:21], -v[134:135]
	v_fma_f64 v[66:67], v[86:87], s[20:21], v[134:135]
	;; [unrolled: 10-line block ×4, first 2 shown]
	v_add_f64 v[148:149], v[148:149], v[144:145]
	v_mul_f64 v[144:145], v[14:15], s[16:17]
	v_add_f64 v[6:7], v[6:7], v[4:5]
	v_mul_f64 v[14:15], v[14:15], s[4:5]
	v_fma_f64 v[154:155], v[12:13], s[14:15], v[144:145]
	v_fma_f64 v[132:133], v[12:13], s[14:15], -v[144:145]
	v_add_f64 v[146:147], v[154:155], v[146:147]
	v_add_co_u32 v154, vcc_lo, 0x1800, v64
	v_add_co_ci_u32_e32 v155, vcc_lo, 0, v65, vcc_lo
	v_add_f64 v[4:5], v[132:133], v[66:67]
	v_fma_f64 v[66:67], v[10:11], s[6:7], v[96:97]
	v_fma_f64 v[96:97], v[68:69], s[6:7], -v[98:99]
	v_fma_f64 v[98:99], v[78:79], s[0:1], v[100:101]
	v_fma_f64 v[100:101], v[12:13], s[20:21], -v[114:115]
	global_store_dwordx4 v[154:155], v[146:149], off offset:1344
	v_mul_f64 v[146:147], v[82:83], s[28:29]
	v_mul_f64 v[148:149], v[84:85], s[28:29]
	;; [unrolled: 1-line block ×3, first 2 shown]
	s_mov_b32 s29, 0xbfddbe06
	v_mul_f64 v[126:127], v[126:127], s[28:29]
	v_fma_f64 v[174:175], v[124:125], s[20:21], v[126:127]
	v_fma_f64 v[124:125], v[124:125], s[20:21], -v[126:127]
	v_mul_f64 v[126:127], v[130:131], s[4:5]
	v_mul_f64 v[130:131], v[130:131], s[28:29]
	v_add_f64 v[174:175], v[2:3], v[174:175]
	v_fma_f64 v[180:181], v[120:121], s[0:1], v[126:127]
	v_fma_f64 v[126:127], v[120:121], s[0:1], -v[126:127]
	v_fma_f64 v[186:187], v[120:121], s[20:21], -v[130:131]
	v_fma_f64 v[120:121], v[120:121], s[20:21], v[130:131]
	v_add_f64 v[130:131], v[2:3], v[170:171]
	v_add_f64 v[170:171], v[0:1], v[182:183]
	;; [unrolled: 1-line block ×3, first 2 shown]
	v_fma_f64 v[122:123], v[68:69], s[20:21], v[160:161]
	v_fma_f64 v[160:161], v[68:69], s[20:21], -v[160:161]
	v_add_f64 v[172:173], v[0:1], v[180:181]
	v_add_f64 v[126:127], v[0:1], v[126:127]
	;; [unrolled: 1-line block ×4, first 2 shown]
	v_fma_f64 v[0:1], v[10:11], s[14:15], -v[194:195]
	v_add_f64 v[180:181], v[2:3], v[128:129]
	v_add_f64 v[186:187], v[2:3], v[124:125]
	v_fma_f64 v[2:3], v[68:69], s[14:15], v[196:197]
	v_mul_f64 v[128:129], v[74:75], s[24:25]
	v_mul_f64 v[124:125], v[82:83], s[16:17]
	v_add_f64 v[96:97], v[96:97], v[182:183]
	v_add_f64 v[122:123], v[122:123], v[172:173]
	;; [unrolled: 1-line block ×3, first 2 shown]
	v_fma_f64 v[160:161], v[12:13], s[18:19], -v[230:231]
	v_add_f64 v[0:1], v[0:1], v[116:117]
	v_fma_f64 v[116:117], v[78:79], s[20:21], -v[146:147]
	v_add_f64 v[66:67], v[66:67], v[180:181]
	v_add_f64 v[2:3], v[2:3], v[118:119]
	v_fma_f64 v[146:147], v[78:79], s[20:21], v[146:147]
	v_add_f64 v[58:59], v[58:59], v[186:187]
	v_add_f64 v[0:1], v[116:117], v[0:1]
	v_fma_f64 v[116:117], v[80:81], s[20:21], v[148:149]
	v_add_f64 v[66:67], v[98:99], v[66:67]
	v_fma_f64 v[98:99], v[80:81], s[0:1], -v[102:103]
	v_fma_f64 v[148:149], v[80:81], s[20:21], -v[148:149]
	v_add_f64 v[2:3], v[116:117], v[2:3]
	v_fma_f64 v[116:117], v[86:87], s[18:19], -v[198:199]
	v_add_f64 v[96:97], v[98:99], v[96:97]
	v_fma_f64 v[98:99], v[86:87], s[14:15], v[104:105]
	v_add_f64 v[0:1], v[116:117], v[0:1]
	v_fma_f64 v[116:117], v[88:89], s[18:19], v[200:201]
	v_add_f64 v[66:67], v[98:99], v[66:67]
	v_fma_f64 v[98:99], v[88:89], s[14:15], -v[106:107]
	v_add_f64 v[2:3], v[116:117], v[2:3]
	v_fma_f64 v[116:117], v[76:77], s[0:1], -v[202:203]
	v_add_f64 v[96:97], v[98:99], v[96:97]
	v_fma_f64 v[98:99], v[76:77], s[18:19], v[108:109]
	v_add_f64 v[0:1], v[116:117], v[0:1]
	v_fma_f64 v[116:117], v[62:63], s[0:1], v[204:205]
	v_add_f64 v[66:67], v[98:99], v[66:67]
	;; [unrolled: 8-line block ×3, first 2 shown]
	v_add_f64 v[96:97], v[100:101], v[96:97]
	v_add_f64 v[0:1], v[0:1], v[116:117]
	v_fma_f64 v[116:117], v[10:11], s[18:19], -v[128:129]
	v_fma_f64 v[128:129], v[10:11], s[18:19], v[128:129]
	v_add_f64 v[116:117], v[116:117], v[130:131]
	v_mul_f64 v[130:131], v[72:73], s[24:25]
	v_add_f64 v[128:129], v[128:129], v[164:165]
	v_fma_f64 v[118:119], v[68:69], s[18:19], v[130:131]
	v_fma_f64 v[130:131], v[68:69], s[18:19], -v[130:131]
	v_add_f64 v[118:119], v[118:119], v[170:171]
	v_mul_f64 v[170:171], v[82:83], s[12:13]
	v_add_f64 v[130:131], v[130:131], v[176:177]
	v_fma_f64 v[120:121], v[78:79], s[10:11], -v[170:171]
	v_add_f64 v[116:117], v[120:121], v[116:117]
	v_fma_f64 v[120:121], v[80:81], s[10:11], v[210:211]
	v_add_f64 v[118:119], v[120:121], v[118:119]
	v_fma_f64 v[120:121], v[86:87], s[0:1], -v[212:213]
	v_add_f64 v[116:117], v[120:121], v[116:117]
	v_fma_f64 v[120:121], v[88:89], s[0:1], v[214:215]
	v_add_f64 v[118:119], v[120:121], v[118:119]
	v_fma_f64 v[120:121], v[76:77], s[20:21], -v[154:155]
	v_fma_f64 v[154:155], v[76:77], s[20:21], v[154:155]
	v_add_f64 v[116:117], v[120:121], v[116:117]
	v_fma_f64 v[120:121], v[62:63], s[20:21], v[156:157]
	v_add_f64 v[120:121], v[120:121], v[118:119]
	v_fma_f64 v[118:119], v[18:19], s[6:7], -v[216:217]
	v_add_f64 v[118:119], v[118:119], v[116:117]
	v_fma_f64 v[116:117], v[12:13], s[6:7], v[218:219]
	v_add_f64 v[116:117], v[116:117], v[120:121]
	v_fma_f64 v[120:121], v[10:11], s[20:21], -v[158:159]
	v_fma_f64 v[158:159], v[10:11], s[20:21], v[158:159]
	v_add_f64 v[120:121], v[120:121], v[168:169]
	v_fma_f64 v[168:169], v[78:79], s[14:15], -v[124:125]
	v_add_f64 v[158:159], v[158:159], v[162:163]
	v_fma_f64 v[124:125], v[78:79], s[14:15], v[124:125]
	v_add_f64 v[120:121], v[168:169], v[120:121]
	v_mul_f64 v[168:169], v[84:85], s[16:17]
	v_add_f64 v[124:125], v[124:125], v[158:159]
	v_fma_f64 v[172:173], v[80:81], s[14:15], v[168:169]
	v_fma_f64 v[158:159], v[80:81], s[14:15], -v[168:169]
	v_add_f64 v[122:123], v[172:173], v[122:123]
	v_mul_f64 v[172:173], v[94:95], s[22:23]
	v_add_f64 v[126:127], v[158:159], v[126:127]
	v_fma_f64 v[220:221], v[86:87], s[10:11], -v[172:173]
	v_fma_f64 v[158:159], v[86:87], s[10:11], v[172:173]
	v_add_f64 v[120:121], v[220:221], v[120:121]
	v_mul_f64 v[220:221], v[92:93], s[22:23]
	v_add_f64 v[124:125], v[158:159], v[124:125]
	v_fma_f64 v[222:223], v[88:89], s[10:11], v[220:221]
	v_fma_f64 v[158:159], v[88:89], s[10:11], -v[220:221]
	v_add_f64 v[122:123], v[222:223], v[122:123]
	v_mul_f64 v[222:223], v[90:91], s[8:9]
	v_add_f64 v[126:127], v[158:159], v[126:127]
	v_fma_f64 v[224:225], v[76:77], s[6:7], -v[222:223]
	v_fma_f64 v[158:159], v[76:77], s[6:7], v[222:223]
	v_add_f64 v[120:121], v[224:225], v[120:121]
	v_mul_f64 v[224:225], v[70:71], s[8:9]
	v_add_f64 v[124:125], v[158:159], v[124:125]
	v_fma_f64 v[158:159], v[62:63], s[6:7], -v[224:225]
	v_fma_f64 v[226:227], v[62:63], s[6:7], v[224:225]
	v_add_f64 v[158:159], v[158:159], v[126:127]
	v_fma_f64 v[126:127], v[18:19], s[18:19], v[228:229]
	v_add_f64 v[226:227], v[226:227], v[122:123]
	v_fma_f64 v[122:123], v[18:19], s[18:19], -v[228:229]
	v_add_f64 v[126:127], v[126:127], v[124:125]
	v_add_f64 v[124:125], v[160:161], v[158:159]
	v_fma_f64 v[158:159], v[78:79], s[10:11], v[170:171]
	v_add_f64 v[122:123], v[122:123], v[120:121]
	v_fma_f64 v[120:121], v[12:13], s[18:19], v[230:231]
	v_add_f64 v[128:129], v[158:159], v[128:129]
	v_fma_f64 v[158:159], v[80:81], s[10:11], -v[210:211]
	v_add_f64 v[120:121], v[120:121], v[226:227]
	v_add_f64 v[130:131], v[158:159], v[130:131]
	v_fma_f64 v[158:159], v[86:87], s[0:1], v[212:213]
	v_add_f64 v[128:129], v[158:159], v[128:129]
	v_fma_f64 v[158:159], v[88:89], s[0:1], -v[214:215]
	v_add_f64 v[128:129], v[154:155], v[128:129]
	v_add_f64 v[130:131], v[158:159], v[130:131]
	v_fma_f64 v[154:155], v[62:63], s[20:21], -v[156:157]
	v_fma_f64 v[156:157], v[12:13], s[6:7], -v[218:219]
	v_add_f64 v[154:155], v[154:155], v[130:131]
	v_fma_f64 v[130:131], v[18:19], s[6:7], v[216:217]
	v_add_f64 v[130:131], v[130:131], v[128:129]
	v_add_f64 v[128:129], v[156:157], v[154:155]
	v_fma_f64 v[154:155], v[10:11], s[14:15], v[194:195]
	v_fma_f64 v[156:157], v[68:69], s[14:15], -v[196:197]
	v_fma_f64 v[10:11], v[10:11], s[10:11], v[56:57]
	v_mul_f64 v[56:57], v[72:73], s[12:13]
	v_add_f64 v[154:155], v[154:155], v[166:167]
	v_add_f64 v[156:157], v[156:157], v[178:179]
	;; [unrolled: 1-line block ×3, first 2 shown]
	v_fma_f64 v[66:67], v[68:69], s[10:11], v[56:57]
	v_fma_f64 v[56:57], v[68:69], s[10:11], -v[56:57]
	v_mul_f64 v[68:69], v[82:83], s[2:3]
	v_add_f64 v[146:147], v[146:147], v[154:155]
	v_fma_f64 v[154:155], v[86:87], s[18:19], v[198:199]
	v_add_f64 v[148:149], v[148:149], v[156:157]
	v_add_f64 v[66:67], v[66:67], v[192:193]
	;; [unrolled: 1-line block ×3, first 2 shown]
	v_fma_f64 v[72:73], v[78:79], s[18:19], -v[68:69]
	v_fma_f64 v[68:69], v[78:79], s[18:19], v[68:69]
	v_fma_f64 v[156:157], v[12:13], s[10:11], -v[208:209]
	v_add_f64 v[146:147], v[154:155], v[146:147]
	v_fma_f64 v[154:155], v[88:89], s[18:19], -v[200:201]
	v_add_f64 v[54:55], v[54:55], v[66:67]
	v_add_f64 v[52:53], v[52:53], v[56:57]
	;; [unrolled: 1-line block ×5, first 2 shown]
	v_fma_f64 v[154:155], v[76:77], s[0:1], v[202:203]
	v_add_f64 v[38:39], v[38:39], v[54:55]
	v_add_f64 v[42:43], v[42:43], v[58:59]
	;; [unrolled: 1-line block ×4, first 2 shown]
	v_fma_f64 v[154:155], v[62:63], s[0:1], -v[204:205]
	v_add_f64 v[26:27], v[26:27], v[42:43]
	v_add_f64 v[30:31], v[30:31], v[38:39]
	;; [unrolled: 1-line block ×3, first 2 shown]
	v_add_co_u32 v38, vcc_lo, 0x2000, v64
	v_add_co_ci_u32_e32 v39, vcc_lo, 0, v65, vcc_lo
	global_store_dwordx4 v[38:39], v[0:3], off offset:1792
	v_add_f64 v[154:155], v[154:155], v[148:149]
	v_fma_f64 v[148:149], v[18:19], s[10:11], v[206:207]
	v_fma_f64 v[18:19], v[18:19], s[0:1], v[32:33]
	v_add_f64 v[32:33], v[36:37], v[52:53]
	v_fma_f64 v[36:37], v[12:13], s[0:1], v[14:15]
	v_fma_f64 v[14:15], v[12:13], s[0:1], -v[14:15]
	v_add_f64 v[12:13], v[34:35], v[26:27]
	v_add_co_u32 v26, vcc_lo, 0x3000, v64
	v_add_co_ci_u32_e32 v27, vcc_lo, 0, v65, vcc_lo
	v_add_f64 v[148:149], v[148:149], v[146:147]
	v_add_f64 v[146:147], v[156:157], v[154:155]
	;; [unrolled: 1-line block ×5, first 2 shown]
	v_add_co_u32 v30, vcc_lo, 0x3800, v64
	v_add_co_ci_u32_e32 v31, vcc_lo, 0, v65, vcc_lo
	v_add_f64 v[20:21], v[18:19], v[22:23]
	v_add_f64 v[18:19], v[14:15], v[28:29]
	v_add_co_u32 v14, vcc_lo, 0x4000, v64
	v_add_co_ci_u32_e32 v15, vcc_lo, 0, v65, vcc_lo
	v_add_co_u32 v28, vcc_lo, 0x4800, v64
	v_add_co_ci_u32_e32 v29, vcc_lo, 0, v65, vcc_lo
	v_add_f64 v[22:23], v[16:17], v[32:33]
	v_add_co_u32 v8, vcc_lo, 0x5000, v64
	v_add_co_ci_u32_e32 v9, vcc_lo, 0, v65, vcc_lo
	v_add_co_u32 v16, vcc_lo, 0x6000, v64
	v_add_co_ci_u32_e32 v17, vcc_lo, 0, v65, vcc_lo
	;; [unrolled: 2-line block ×5, first 2 shown]
	global_store_dwordx4 v[26:27], v[116:119], off offset:192
	global_store_dwordx4 v[30:31], v[120:123], off offset:640
	;; [unrolled: 1-line block ×8, first 2 shown]
	global_store_dwordx4 v[64:65], v[22:25], off
	global_store_dwordx4 v[32:33], v[18:21], off offset:1280
.LBB0_21:
	s_endpgm
	.section	.rodata,"a",@progbits
	.p2align	6, 0x0
	.amdhsa_kernel fft_rtc_back_len2028_factors_13_4_3_13_wgs_156_tpt_156_dp_ip_CI_unitstride_sbrr_dirReg
		.amdhsa_group_segment_fixed_size 0
		.amdhsa_private_segment_fixed_size 0
		.amdhsa_kernarg_size 88
		.amdhsa_user_sgpr_count 6
		.amdhsa_user_sgpr_private_segment_buffer 1
		.amdhsa_user_sgpr_dispatch_ptr 0
		.amdhsa_user_sgpr_queue_ptr 0
		.amdhsa_user_sgpr_kernarg_segment_ptr 1
		.amdhsa_user_sgpr_dispatch_id 0
		.amdhsa_user_sgpr_flat_scratch_init 0
		.amdhsa_user_sgpr_private_segment_size 0
		.amdhsa_wavefront_size32 1
		.amdhsa_uses_dynamic_stack 0
		.amdhsa_system_sgpr_private_segment_wavefront_offset 0
		.amdhsa_system_sgpr_workgroup_id_x 1
		.amdhsa_system_sgpr_workgroup_id_y 0
		.amdhsa_system_sgpr_workgroup_id_z 0
		.amdhsa_system_sgpr_workgroup_info 0
		.amdhsa_system_vgpr_workitem_id 0
		.amdhsa_next_free_vgpr 232
		.amdhsa_next_free_sgpr 36
		.amdhsa_reserve_vcc 1
		.amdhsa_reserve_flat_scratch 0
		.amdhsa_float_round_mode_32 0
		.amdhsa_float_round_mode_16_64 0
		.amdhsa_float_denorm_mode_32 3
		.amdhsa_float_denorm_mode_16_64 3
		.amdhsa_dx10_clamp 1
		.amdhsa_ieee_mode 1
		.amdhsa_fp16_overflow 0
		.amdhsa_workgroup_processor_mode 1
		.amdhsa_memory_ordered 1
		.amdhsa_forward_progress 0
		.amdhsa_shared_vgpr_count 0
		.amdhsa_exception_fp_ieee_invalid_op 0
		.amdhsa_exception_fp_denorm_src 0
		.amdhsa_exception_fp_ieee_div_zero 0
		.amdhsa_exception_fp_ieee_overflow 0
		.amdhsa_exception_fp_ieee_underflow 0
		.amdhsa_exception_fp_ieee_inexact 0
		.amdhsa_exception_int_div_zero 0
	.end_amdhsa_kernel
	.text
.Lfunc_end0:
	.size	fft_rtc_back_len2028_factors_13_4_3_13_wgs_156_tpt_156_dp_ip_CI_unitstride_sbrr_dirReg, .Lfunc_end0-fft_rtc_back_len2028_factors_13_4_3_13_wgs_156_tpt_156_dp_ip_CI_unitstride_sbrr_dirReg
                                        ; -- End function
	.section	.AMDGPU.csdata,"",@progbits
; Kernel info:
; codeLenInByte = 13128
; NumSgprs: 38
; NumVgprs: 232
; ScratchSize: 0
; MemoryBound: 1
; FloatMode: 240
; IeeeMode: 1
; LDSByteSize: 0 bytes/workgroup (compile time only)
; SGPRBlocks: 4
; VGPRBlocks: 28
; NumSGPRsForWavesPerEU: 38
; NumVGPRsForWavesPerEU: 232
; Occupancy: 4
; WaveLimiterHint : 1
; COMPUTE_PGM_RSRC2:SCRATCH_EN: 0
; COMPUTE_PGM_RSRC2:USER_SGPR: 6
; COMPUTE_PGM_RSRC2:TRAP_HANDLER: 0
; COMPUTE_PGM_RSRC2:TGID_X_EN: 1
; COMPUTE_PGM_RSRC2:TGID_Y_EN: 0
; COMPUTE_PGM_RSRC2:TGID_Z_EN: 0
; COMPUTE_PGM_RSRC2:TIDIG_COMP_CNT: 0
	.text
	.p2alignl 6, 3214868480
	.fill 48, 4, 3214868480
	.type	__hip_cuid_5dcc4b33d848d31e,@object ; @__hip_cuid_5dcc4b33d848d31e
	.section	.bss,"aw",@nobits
	.globl	__hip_cuid_5dcc4b33d848d31e
__hip_cuid_5dcc4b33d848d31e:
	.byte	0                               ; 0x0
	.size	__hip_cuid_5dcc4b33d848d31e, 1

	.ident	"AMD clang version 19.0.0git (https://github.com/RadeonOpenCompute/llvm-project roc-6.4.0 25133 c7fe45cf4b819c5991fe208aaa96edf142730f1d)"
	.section	".note.GNU-stack","",@progbits
	.addrsig
	.addrsig_sym __hip_cuid_5dcc4b33d848d31e
	.amdgpu_metadata
---
amdhsa.kernels:
  - .args:
      - .actual_access:  read_only
        .address_space:  global
        .offset:         0
        .size:           8
        .value_kind:     global_buffer
      - .offset:         8
        .size:           8
        .value_kind:     by_value
      - .actual_access:  read_only
        .address_space:  global
        .offset:         16
        .size:           8
        .value_kind:     global_buffer
      - .actual_access:  read_only
        .address_space:  global
        .offset:         24
        .size:           8
        .value_kind:     global_buffer
      - .offset:         32
        .size:           8
        .value_kind:     by_value
      - .actual_access:  read_only
        .address_space:  global
        .offset:         40
        .size:           8
        .value_kind:     global_buffer
      - .actual_access:  read_only
        .address_space:  global
        .offset:         48
        .size:           8
        .value_kind:     global_buffer
      - .offset:         56
        .size:           4
        .value_kind:     by_value
      - .actual_access:  read_only
        .address_space:  global
        .offset:         64
        .size:           8
        .value_kind:     global_buffer
      - .actual_access:  read_only
        .address_space:  global
        .offset:         72
        .size:           8
        .value_kind:     global_buffer
      - .address_space:  global
        .offset:         80
        .size:           8
        .value_kind:     global_buffer
    .group_segment_fixed_size: 0
    .kernarg_segment_align: 8
    .kernarg_segment_size: 88
    .language:       OpenCL C
    .language_version:
      - 2
      - 0
    .max_flat_workgroup_size: 156
    .name:           fft_rtc_back_len2028_factors_13_4_3_13_wgs_156_tpt_156_dp_ip_CI_unitstride_sbrr_dirReg
    .private_segment_fixed_size: 0
    .sgpr_count:     38
    .sgpr_spill_count: 0
    .symbol:         fft_rtc_back_len2028_factors_13_4_3_13_wgs_156_tpt_156_dp_ip_CI_unitstride_sbrr_dirReg.kd
    .uniform_work_group_size: 1
    .uses_dynamic_stack: false
    .vgpr_count:     232
    .vgpr_spill_count: 0
    .wavefront_size: 32
    .workgroup_processor_mode: 1
amdhsa.target:   amdgcn-amd-amdhsa--gfx1030
amdhsa.version:
  - 1
  - 2
...

	.end_amdgpu_metadata
